;; amdgpu-corpus repo=ROCm/rocFFT kind=compiled arch=gfx1100 opt=O3
	.text
	.amdgcn_target "amdgcn-amd-amdhsa--gfx1100"
	.amdhsa_code_object_version 6
	.protected	bluestein_single_back_len2002_dim1_dp_op_CI_CI ; -- Begin function bluestein_single_back_len2002_dim1_dp_op_CI_CI
	.globl	bluestein_single_back_len2002_dim1_dp_op_CI_CI
	.p2align	8
	.type	bluestein_single_back_len2002_dim1_dp_op_CI_CI,@function
bluestein_single_back_len2002_dim1_dp_op_CI_CI: ; @bluestein_single_back_len2002_dim1_dp_op_CI_CI
; %bb.0:
	s_load_b128 s[8:11], s[0:1], 0x28
	v_mul_u32_u24_e32 v1, 0x169, v0
	s_mov_b32 s2, exec_lo
	v_mov_b32_e32 v14, 0
	s_delay_alu instid0(VALU_DEP_2) | instskip(NEXT) | instid1(VALU_DEP_1)
	v_lshrrev_b32_e32 v1, 16, v1
	v_add_nc_u32_e32 v13, s15, v1
	s_waitcnt lgkmcnt(0)
	s_delay_alu instid0(VALU_DEP_1)
	v_cmpx_gt_u64_e64 s[8:9], v[13:14]
	s_cbranch_execz .LBB0_31
; %bb.1:
	s_clause 0x1
	s_load_b128 s[4:7], s[0:1], 0x18
	s_load_b64 s[2:3], s[0:1], 0x0
	v_mul_lo_u16 v1, 0xb6, v1
	s_delay_alu instid0(VALU_DEP_1) | instskip(NEXT) | instid1(VALU_DEP_1)
	v_sub_nc_u16 v82, v0, v1
	v_and_b32_e32 v12, 0xffff, v82
	s_delay_alu instid0(VALU_DEP_1)
	v_lshlrev_b32_e32 v255, 4, v12
	s_waitcnt lgkmcnt(0)
	s_load_b128 s[12:15], s[4:5], 0x0
	s_clause 0x1
	global_load_b128 v[83:86], v255, s[2:3]
	global_load_b128 v[87:90], v255, s[2:3] offset:2912
	v_add_co_u32 v240, s4, s2, v255
	s_delay_alu instid0(VALU_DEP_1) | instskip(NEXT) | instid1(VALU_DEP_2)
	v_add_co_ci_u32_e64 v96, null, s3, 0, s4
	v_add_co_u32 v10, vcc_lo, 0x3000, v240
	s_delay_alu instid0(VALU_DEP_2)
	v_add_co_ci_u32_e32 v11, vcc_lo, 0, v96, vcc_lo
	v_add_co_u32 v0, vcc_lo, 0x4000, v240
	v_add_co_ci_u32_e32 v1, vcc_lo, 0, v96, vcc_lo
	v_add_co_u32 v2, vcc_lo, 0x1000, v240
	v_add_co_ci_u32_e32 v3, vcc_lo, 0, v96, vcc_lo
	s_waitcnt lgkmcnt(0)
	v_mad_u64_u32 v[4:5], null, s14, v13, 0
	v_add_co_u32 v6, vcc_lo, 0x5000, v240
	scratch_store_b64 off, v[10:11], off offset:28 ; 8-byte Folded Spill
	global_load_b128 v[105:108], v[10:11], off offset:3728
	v_mov_b32_e32 v10, v13
	v_add_co_ci_u32_e32 v7, vcc_lo, 0, v96, vcc_lo
	v_add_co_u32 v34, vcc_lo, 0x2000, v240
	scratch_store_b64 off, v[10:11], off offset:20 ; 8-byte Folded Spill
	v_mad_u64_u32 v[10:11], null, s15, v13, v[5:6]
	s_clause 0x1
	global_load_b128 v[101:104], v[0:1], off offset:2544
	global_load_b128 v[91:94], v[2:3], off offset:1728
	v_add_co_ci_u32_e32 v35, vcc_lo, 0, v96, vcc_lo
	v_add_co_u32 v38, vcc_lo, 0x6000, v240
	v_add_co_ci_u32_e32 v39, vcc_lo, 0, v96, vcc_lo
	v_mov_b32_e32 v5, v10
	v_mad_u64_u32 v[8:9], null, s12, v12, 0
	s_mul_i32 s3, s13, 0x3e9
	s_mul_hi_u32 s5, s12, 0x3e9
	s_mul_i32 s2, s12, 0x3e9
	s_add_i32 s3, s5, s3
	s_mul_hi_u32 s9, s12, 0xfffffccd
	s_mul_i32 s8, s13, 0xfffffccd
	s_delay_alu instid0(VALU_DEP_1)
	v_mad_u64_u32 v[0:1], null, s13, v12, v[9:10]
	s_sub_i32 s5, s9, s12
	s_clause 0x1
	global_load_b128 v[97:100], v[6:7], off offset:1360
	global_load_b128 v[109:112], v[34:35], off offset:544
	s_mul_i32 s4, s12, 0xfffffccd
	s_add_i32 s5, s5, s8
	scratch_store_b32 off, v12, off         ; 4-byte Folded Spill
	v_mov_b32_e32 v9, v0
	v_lshlrev_b64 v[0:1], 4, v[4:5]
	global_load_b128 v[113:116], v[38:39], off offset:176
	v_lshlrev_b64 v[2:3], 4, v[8:9]
	v_add_co_u32 v0, vcc_lo, s10, v0
	v_add_co_ci_u32_e32 v1, vcc_lo, s11, v1, vcc_lo
	s_lshl_b64 s[10:11], s[2:3], 4
	s_delay_alu instid0(VALU_DEP_2) | instskip(NEXT) | instid1(VALU_DEP_2)
	v_add_co_u32 v0, vcc_lo, v0, v2
	v_add_co_ci_u32_e32 v1, vcc_lo, v1, v3, vcc_lo
	s_lshl_b64 s[2:3], s[4:5], 4
	s_delay_alu instid0(VALU_DEP_2) | instskip(NEXT) | instid1(VALU_DEP_2)
	v_add_co_u32 v6, vcc_lo, v0, s10
	v_add_co_ci_u32_e32 v7, vcc_lo, s11, v1, vcc_lo
	s_delay_alu instid0(VALU_DEP_2) | instskip(NEXT) | instid1(VALU_DEP_2)
	v_add_co_u32 v10, vcc_lo, v6, s2
	v_add_co_ci_u32_e32 v11, vcc_lo, s3, v7, vcc_lo
	s_clause 0x1
	global_load_b128 v[2:5], v[0:1], off
	global_load_b128 v[6:9], v[6:7], off
	v_add_co_u32 v14, vcc_lo, v10, s10
	v_add_co_ci_u32_e32 v15, vcc_lo, s11, v11, vcc_lo
	s_delay_alu instid0(VALU_DEP_2) | instskip(NEXT) | instid1(VALU_DEP_2)
	v_add_co_u32 v18, vcc_lo, v14, s2
	v_add_co_ci_u32_e32 v19, vcc_lo, s3, v15, vcc_lo
	s_clause 0x1
	global_load_b128 v[10:13], v[10:11], off
	global_load_b128 v[14:17], v[14:15], off
	v_add_co_u32 v0, vcc_lo, v18, s10
	v_add_co_ci_u32_e32 v1, vcc_lo, s11, v19, vcc_lo
	global_load_b128 v[18:21], v[18:19], off
	v_add_co_u32 v26, vcc_lo, v0, s2
	v_add_co_ci_u32_e32 v27, vcc_lo, s3, v1, vcc_lo
	;; [unrolled: 3-line block ×4, first 2 shown]
	s_delay_alu instid0(VALU_DEP_2) | instskip(NEXT) | instid1(VALU_DEP_2)
	v_add_co_u32 v0, vcc_lo, v36, s10
	v_add_co_ci_u32_e32 v1, vcc_lo, s11, v37, vcc_lo
	global_load_b128 v[30:33], v[30:31], off
	global_load_b128 v[117:120], v[34:35], off offset:3456
	global_load_b128 v[34:37], v[36:37], off
	global_load_b128 v[121:124], v[38:39], off offset:3088
	global_load_b128 v[38:41], v[0:1], off
	v_cmp_gt_u16_e32 vcc_lo, 0x5b, v82
	s_waitcnt vmcnt(19)
	scratch_store_b128 off, v[83:86], off offset:36 ; 16-byte Folded Spill
	s_waitcnt vmcnt(18)
	scratch_store_b128 off, v[87:90], off offset:52 ; 16-byte Folded Spill
	;; [unrolled: 2-line block ×8, first 2 shown]
	s_waitcnt vmcnt(11)
	v_mul_f64 v[42:43], v[4:5], v[85:86]
	v_mul_f64 v[44:45], v[2:3], v[85:86]
	s_waitcnt vmcnt(10)
	v_mul_f64 v[46:47], v[8:9], v[107:108]
	v_mul_f64 v[48:49], v[6:7], v[107:108]
	;; [unrolled: 3-line block ×10, first 2 shown]
	v_fma_f64 v[2:3], v[2:3], v[83:84], v[42:43]
	v_fma_f64 v[4:5], v[4:5], v[83:84], -v[44:45]
	v_fma_f64 v[6:7], v[6:7], v[105:106], v[46:47]
	v_fma_f64 v[8:9], v[8:9], v[105:106], -v[48:49]
	s_clause 0x1
	scratch_store_b128 off, v[117:120], off offset:164
	scratch_store_b128 off, v[121:124], off offset:180
	s_load_b64 s[8:9], s[0:1], 0x38
	s_load_b128 s[4:7], s[6:7], 0x0
	v_fma_f64 v[10:11], v[10:11], v[87:88], v[50:51]
	v_fma_f64 v[12:13], v[12:13], v[87:88], -v[52:53]
	v_fma_f64 v[14:15], v[14:15], v[101:102], v[54:55]
	v_fma_f64 v[16:17], v[16:17], v[101:102], -v[56:57]
	;; [unrolled: 2-line block ×5, first 2 shown]
	ds_store_b128 v255, v[2:5]
	ds_store_b128 v255, v[10:13] offset:2912
	ds_store_b128 v255, v[14:17] offset:18928
	;; [unrolled: 1-line block ×5, first 2 shown]
	v_fma_f64 v[34:35], v[34:35], v[117:118], v[74:75]
	v_fma_f64 v[36:37], v[36:37], v[117:118], -v[76:77]
	v_fma_f64 v[30:31], v[30:31], v[113:114], v[70:71]
	v_fma_f64 v[32:33], v[32:33], v[113:114], -v[72:73]
	;; [unrolled: 2-line block ×3, first 2 shown]
	ds_store_b128 v255, v[6:9] offset:16016
	ds_store_b128 v255, v[34:37] offset:11648
	;; [unrolled: 1-line block ×4, first 2 shown]
	s_and_saveexec_b32 s12, vcc_lo
	s_cbranch_execz .LBB0_3
; %bb.2:
	v_add_co_u32 v0, s2, v0, s2
	s_delay_alu instid0(VALU_DEP_1) | instskip(SKIP_1) | instid1(VALU_DEP_1)
	v_add_co_ci_u32_e64 v1, s2, s3, v1, s2
	v_add_co_u32 v8, s2, 0x7000, v240
	v_add_co_ci_u32_e64 v9, s2, 0, v96, s2
	s_delay_alu instid0(VALU_DEP_4) | instskip(NEXT) | instid1(VALU_DEP_1)
	v_add_co_u32 v12, s2, v0, s10
	v_add_co_ci_u32_e64 v13, s2, s11, v1, s2
	global_load_b128 v[0:3], v[0:1], off
	scratch_load_b64 v[4:5], off, off offset:28 ; 8-byte Folded Reload
	s_waitcnt vmcnt(0)
	s_clause 0x1
	global_load_b128 v[4:7], v[4:5], off offset:2272
	global_load_b128 v[8:11], v[8:9], off offset:1904
	global_load_b128 v[12:15], v[12:13], off
	s_waitcnt vmcnt(2)
	v_mul_f64 v[16:17], v[2:3], v[6:7]
	v_mul_f64 v[6:7], v[0:1], v[6:7]
	s_waitcnt vmcnt(0)
	v_mul_f64 v[18:19], v[14:15], v[10:11]
	v_mul_f64 v[10:11], v[12:13], v[10:11]
	s_delay_alu instid0(VALU_DEP_4) | instskip(NEXT) | instid1(VALU_DEP_4)
	v_fma_f64 v[0:1], v[0:1], v[4:5], v[16:17]
	v_fma_f64 v[2:3], v[2:3], v[4:5], -v[6:7]
	s_delay_alu instid0(VALU_DEP_4) | instskip(NEXT) | instid1(VALU_DEP_4)
	v_fma_f64 v[4:5], v[12:13], v[8:9], v[18:19]
	v_fma_f64 v[6:7], v[14:15], v[8:9], -v[10:11]
	ds_store_b128 v255, v[0:3] offset:14560
	ds_store_b128 v255, v[4:7] offset:30576
.LBB0_3:
	s_or_b32 exec_lo, exec_lo, s12
	s_waitcnt lgkmcnt(0)
	s_waitcnt_vscnt null, 0x0
	s_barrier
	buffer_gl0_inv
	ds_load_b128 v[40:43], v255
	ds_load_b128 v[48:51], v255 offset:2912
	ds_load_b128 v[76:79], v255 offset:18928
	;; [unrolled: 1-line block ×9, first 2 shown]
                                        ; implicit-def: $vgpr84_vgpr85
                                        ; implicit-def: $vgpr80_vgpr81
	s_and_saveexec_b32 s2, vcc_lo
	s_cbranch_execz .LBB0_5
; %bb.4:
	ds_load_b128 v[84:87], v255 offset:14560
	ds_load_b128 v[80:83], v255 offset:30576
.LBB0_5:
	s_or_b32 exec_lo, exec_lo, s2
	s_waitcnt lgkmcnt(7)
	v_add_f64 v[76:77], v[48:49], -v[76:77]
	s_waitcnt lgkmcnt(1)
	v_add_f64 v[44:45], v[56:57], -v[44:45]
	;; [unrolled: 2-line block ×3, first 2 shown]
	v_add_f64 v[88:89], v[84:85], -v[80:81]
	v_add_f64 v[64:65], v[40:41], -v[64:65]
	;; [unrolled: 1-line block ×9, first 2 shown]
	s_load_b64 s[2:3], s[0:1], 0x8
	v_fma_f64 v[80:81], v[48:49], 2.0, -v[76:77]
	v_fma_f64 v[48:49], v[56:57], 2.0, -v[44:45]
	;; [unrolled: 1-line block ×3, first 2 shown]
	scratch_load_b32 v68, off, off          ; 4-byte Folded Reload
	v_fma_f64 v[40:41], v[40:41], 2.0, -v[64:65]
	v_fma_f64 v[42:43], v[42:43], 2.0, -v[66:67]
	;; [unrolled: 1-line block ×9, first 2 shown]
	s_waitcnt vmcnt(0) lgkmcnt(0)
	s_barrier
	buffer_gl0_inv
	v_lshlrev_b16 v0, 1, v68
	v_add_co_u32 v99, null, 0xb6, v68
	v_add_co_u32 v1, null, 0x38e, v68
	s_delay_alu instid0(VALU_DEP_3) | instskip(SKIP_1) | instid1(VALU_DEP_4)
	v_and_b32_e32 v0, 0xffff, v0
	v_lshlrev_b32_e32 v4, 5, v68
	v_lshlrev_b32_e32 v3, 5, v99
	s_delay_alu instid0(VALU_DEP_3)
	v_lshlrev_b32_e32 v2, 4, v0
	v_lshlrev_b32_e32 v0, 5, v1
	ds_store_b128 v2, v[40:43]
	s_clause 0x1
	scratch_store_b32 off, v0, off offset:228
	scratch_store_b32 off, v2, off offset:236
	ds_store_b128 v2, v[64:67] offset:16
	ds_store_b128 v3, v[80:83]
	scratch_store_b32 off, v3, off offset:244 ; 4-byte Folded Spill
	ds_store_b128 v3, v[76:79] offset:16
	ds_store_b128 v4, v[60:63] offset:11648
	;; [unrolled: 1-line block ×6, first 2 shown]
	scratch_store_b32 off, v4, off offset:260 ; 4-byte Folded Spill
	ds_store_b128 v4, v[72:75] offset:23312
	s_and_saveexec_b32 s0, vcc_lo
	s_cbranch_execz .LBB0_7
; %bb.6:
	scratch_load_b32 v0, off, off offset:228 ; 4-byte Folded Reload
	s_waitcnt vmcnt(0)
	ds_store_b128 v0, v[84:87]
	ds_store_b128 v0, v[88:91] offset:16
.LBB0_7:
	s_or_b32 exec_lo, exec_lo, s0
	v_cmp_gt_u16_e64 s0, 0x9a, v68
	s_waitcnt lgkmcnt(0)
	s_waitcnt_vscnt null, 0x0
	s_barrier
	buffer_gl0_inv
                                        ; implicit-def: $vgpr92_vgpr93
	s_and_saveexec_b32 s1, s0
	s_cbranch_execz .LBB0_9
; %bb.8:
	ds_load_b128 v[40:43], v255
	ds_load_b128 v[64:67], v255 offset:2464
	ds_load_b128 v[80:83], v255 offset:4928
	;; [unrolled: 1-line block ×12, first 2 shown]
.LBB0_9:
	s_or_b32 exec_lo, exec_lo, s1
	v_and_b32_e32 v0, 1, v68
	s_mov_b32 s23, 0xbfddbe06
	s_mov_b32 s22, 0x4267c47c
	;; [unrolled: 1-line block ×4, first 2 shown]
	scratch_store_b32 off, v0, off offset:300 ; 4-byte Folded Spill
	v_mul_u32_u24_e32 v0, 12, v0
	s_mov_b32 s13, 0x3fec55a7
	s_mov_b32 s25, 0xbfea55e2
	;; [unrolled: 1-line block ×4, first 2 shown]
	v_lshlrev_b32_e32 v4, 4, v0
	s_mov_b32 s28, 0x66966769
	s_mov_b32 s29, 0xbfefc445
	;; [unrolled: 1-line block ×3, first 2 shown]
	s_clause 0x1
	global_load_b128 v[5:8], v4, s[2:3]
	global_load_b128 v[100:103], v4, s[2:3] offset:16
	s_mov_b32 s15, 0x3fbedb7d
	s_mov_b32 s26, 0x2ef20147
	;; [unrolled: 1-line block ×19, first 2 shown]
	s_waitcnt vmcnt(1)
	scratch_store_b128 off, v[5:8], off offset:212 ; 16-byte Folded Spill
	s_clause 0x1
	global_load_b128 v[136:139], v4, s[2:3] offset:176
	global_load_b128 v[104:107], v4, s[2:3] offset:160
	s_waitcnt lgkmcnt(11)
	v_mul_f64 v[0:1], v[66:67], v[7:8]
	v_mul_f64 v[2:3], v[64:65], v[7:8]
	s_delay_alu instid0(VALU_DEP_2) | instskip(NEXT) | instid1(VALU_DEP_2)
	v_fma_f64 v[164:165], v[64:65], v[5:6], -v[0:1]
	v_fma_f64 v[166:167], v[66:67], v[5:6], v[2:3]
	v_lshrrev_b32_e32 v64, 1, v68
	s_waitcnt vmcnt(1) lgkmcnt(0)
	v_mul_f64 v[0:1], v[92:93], v[138:139]
	s_delay_alu instid0(VALU_DEP_1) | instskip(SKIP_1) | instid1(VALU_DEP_2)
	v_fma_f64 v[65:66], v[94:95], v[136:137], v[0:1]
	v_mul_f64 v[0:1], v[94:95], v[138:139]
	v_add_f64 v[108:109], v[166:167], -v[65:66]
	s_delay_alu instid0(VALU_DEP_2) | instskip(SKIP_2) | instid1(VALU_DEP_4)
	v_fma_f64 v[69:70], v[92:93], v[136:137], -v[0:1]
	v_mul_f64 v[0:1], v[82:83], v[102:103]
	v_add_f64 v[214:215], v[166:167], v[65:66]
	v_mul_f64 v[253:254], v[108:109], s[24:25]
	s_delay_alu instid0(VALU_DEP_4) | instskip(NEXT) | instid1(VALU_DEP_4)
	v_add_f64 v[2:3], v[164:165], v[69:70]
	v_fma_f64 v[13:14], v[80:81], v[100:101], -v[0:1]
	v_mul_f64 v[0:1], v[80:81], v[102:103]
	v_add_f64 v[112:113], v[164:165], -v[69:70]
	v_mul_f64 v[118:119], v[108:109], s[28:29]
	v_mul_f64 v[192:193], v[108:109], s[30:31]
	s_delay_alu instid0(VALU_DEP_4)
	v_fma_f64 v[15:16], v[82:83], v[100:101], v[0:1]
	s_waitcnt vmcnt(0)
	v_mul_f64 v[0:1], v[88:89], v[106:107]
	s_clause 0x1
	global_load_b128 v[80:83], v4, s[2:3] offset:32
	global_load_b128 v[5:8], v4, s[2:3] offset:48
	v_mul_f64 v[210:211], v[112:113], s[22:23]
	v_mul_f64 v[120:121], v[112:113], s[28:29]
	;; [unrolled: 1-line block ×4, first 2 shown]
	v_fma_f64 v[9:10], v[90:91], v[104:105], v[0:1]
	v_mul_f64 v[0:1], v[90:91], v[106:107]
	s_delay_alu instid0(VALU_DEP_2) | instskip(NEXT) | instid1(VALU_DEP_2)
	v_add_f64 v[110:111], v[15:16], -v[9:10]
	v_fma_f64 v[11:12], v[88:89], v[104:105], -v[0:1]
	s_clause 0x1
	global_load_b128 v[88:91], v4, s[2:3] offset:144
	global_load_b128 v[92:95], v4, s[2:3] offset:128
	v_add_f64 v[174:175], v[15:16], v[9:10]
	v_mul_f64 v[226:227], v[110:111], s[36:37]
	v_add_f64 v[162:163], v[13:14], v[11:12]
	v_add_f64 v[114:115], v[13:14], -v[11:12]
	s_delay_alu instid0(VALU_DEP_2) | instskip(NEXT) | instid1(VALU_DEP_2)
	v_fma_f64 v[148:149], v[162:163], s[14:15], v[226:227]
	v_mul_f64 v[218:219], v[114:115], s[38:39]
	v_mul_f64 v[243:244], v[114:115], s[36:37]
	s_delay_alu instid0(VALU_DEP_2) | instskip(NEXT) | instid1(VALU_DEP_2)
	v_fma_f64 v[146:147], v[174:175], s[18:19], -v[218:219]
	v_fma_f64 v[156:157], v[174:175], s[14:15], -v[243:244]
	s_waitcnt vmcnt(3)
	v_mul_f64 v[0:1], v[78:79], v[82:83]
	s_waitcnt vmcnt(2)
	scratch_store_b128 off, v[5:8], off offset:196 ; 16-byte Folded Spill
	v_fma_f64 v[17:18], v[76:77], v[80:81], -v[0:1]
	v_mul_f64 v[0:1], v[76:77], v[82:83]
	s_delay_alu instid0(VALU_DEP_1) | instskip(SKIP_2) | instid1(VALU_DEP_1)
	v_fma_f64 v[19:20], v[78:79], v[80:81], v[0:1]
	s_waitcnt vmcnt(1)
	v_mul_f64 v[0:1], v[86:87], v[90:91]
	v_fma_f64 v[21:22], v[84:85], v[88:89], -v[0:1]
	v_mul_f64 v[0:1], v[84:85], v[90:91]
	s_delay_alu instid0(VALU_DEP_2) | instskip(NEXT) | instid1(VALU_DEP_2)
	v_add_f64 v[170:171], v[17:18], v[21:22]
	v_fma_f64 v[23:24], v[86:87], v[88:89], v[0:1]
	v_mul_f64 v[0:1], v[62:63], v[7:8]
	v_add_f64 v[122:123], v[17:18], -v[21:22]
	s_delay_alu instid0(VALU_DEP_3) | instskip(NEXT) | instid1(VALU_DEP_3)
	v_add_f64 v[116:117], v[19:20], -v[23:24]
	v_fma_f64 v[29:30], v[60:61], v[5:6], -v[0:1]
	v_mul_f64 v[0:1], v[60:61], v[7:8]
	v_add_f64 v[182:183], v[19:20], v[23:24]
	v_mul_f64 v[245:246], v[122:123], s[24:25]
	v_mul_f64 v[184:185], v[122:123], s[30:31]
	;; [unrolled: 1-line block ×3, first 2 shown]
	v_fma_f64 v[31:32], v[62:63], v[5:6], v[0:1]
	s_waitcnt vmcnt(0)
	v_mul_f64 v[0:1], v[74:75], v[94:95]
	v_mul_f64 v[6:7], v[110:111], s[24:25]
	s_delay_alu instid0(VALU_DEP_2) | instskip(SKIP_1) | instid1(VALU_DEP_2)
	v_fma_f64 v[25:26], v[72:73], v[92:93], -v[0:1]
	v_mul_f64 v[0:1], v[72:73], v[94:95]
	v_add_f64 v[178:179], v[29:30], v[25:26]
	s_delay_alu instid0(VALU_DEP_2)
	v_fma_f64 v[27:28], v[74:75], v[92:93], v[0:1]
	s_clause 0x3
	global_load_b128 v[76:79], v4, s[2:3] offset:64
	global_load_b128 v[72:75], v4, s[2:3] offset:80
	;; [unrolled: 1-line block ×4, first 2 shown]
	scratch_store_b64 off, v[6:7], off offset:412 ; 8-byte Folded Spill
	v_fma_f64 v[6:7], v[162:163], s[10:11], v[6:7]
	s_clause 0x3
	scratch_store_b64 off, v[11:12], off offset:252
	scratch_store_b64 off, v[13:14], off offset:268
	;; [unrolled: 1-line block ×4, first 2 shown]
	v_mul_f64 v[8:9], v[114:115], s[24:25]
	v_add_f64 v[97:98], v[29:30], -v[25:26]
	v_add_f64 v[168:169], v[31:32], -v[27:28]
	v_add_f64 v[190:191], v[31:32], v[27:28]
	scratch_store_b64 off, v[8:9], off offset:428 ; 8-byte Folded Spill
	v_fma_f64 v[8:9], v[174:175], s[10:11], -v[8:9]
	v_mul_f64 v[228:229], v[97:98], s[28:29]
	v_mul_f64 v[216:217], v[168:169], s[28:29]
	s_waitcnt vmcnt(3)
	v_mul_f64 v[0:1], v[54:55], v[78:79]
	s_delay_alu instid0(VALU_DEP_1) | instskip(SKIP_1) | instid1(VALU_DEP_1)
	v_fma_f64 v[33:34], v[52:53], v[76:77], -v[0:1]
	v_mul_f64 v[0:1], v[52:53], v[78:79]
	v_fma_f64 v[52:53], v[54:55], v[76:77], v[0:1]
	s_waitcnt vmcnt(1)
	v_mul_f64 v[0:1], v[58:59], v[62:63]
	s_delay_alu instid0(VALU_DEP_1) | instskip(SKIP_1) | instid1(VALU_DEP_2)
	v_fma_f64 v[54:55], v[56:57], v[60:61], -v[0:1]
	v_mul_f64 v[0:1], v[56:57], v[62:63]
	v_add_f64 v[186:187], v[33:34], v[54:55]
	s_delay_alu instid0(VALU_DEP_2) | instskip(SKIP_2) | instid1(VALU_DEP_3)
	v_fma_f64 v[56:57], v[58:59], v[60:61], v[0:1]
	v_mul_f64 v[0:1], v[50:51], v[74:75]
	v_add_f64 v[152:153], v[33:34], -v[54:55]
	v_add_f64 v[200:201], v[52:53], -v[56:57]
	s_delay_alu instid0(VALU_DEP_3) | instskip(SKIP_3) | instid1(VALU_DEP_3)
	v_fma_f64 v[58:59], v[48:49], v[72:73], -v[0:1]
	v_mul_f64 v[0:1], v[48:49], v[74:75]
	v_add_f64 v[198:199], v[52:53], v[56:57]
	v_mul_f64 v[208:209], v[152:153], s[24:25]
	v_fma_f64 v[50:51], v[50:51], v[72:73], v[0:1]
	s_waitcnt vmcnt(0)
	v_mul_f64 v[0:1], v[46:47], v[86:87]
	s_delay_alu instid0(VALU_DEP_1) | instskip(SKIP_1) | instid1(VALU_DEP_2)
	v_fma_f64 v[48:49], v[44:45], v[84:85], -v[0:1]
	v_mul_f64 v[0:1], v[44:45], v[86:87]
	v_add_f64 v[194:195], v[58:59], v[48:49]
	s_delay_alu instid0(VALU_DEP_2) | instskip(SKIP_4) | instid1(SALU_CYCLE_1)
	v_fma_f64 v[44:45], v[46:47], v[84:85], v[0:1]
	v_mul_f64 v[0:1], v[108:109], s[22:23]
	v_add_f64 v[160:161], v[58:59], -v[48:49]
	v_mul_f64 v[46:47], v[112:113], s[24:25]
	s_mov_b32 s23, 0x3fddbe06
	v_mul_f64 v[204:205], v[97:98], s[22:23]
	v_mul_f64 v[206:207], v[116:117], s[22:23]
	;; [unrolled: 1-line block ×7, first 2 shown]
	v_add_f64 v[154:155], v[50:51], -v[44:45]
	v_fma_f64 v[4:5], v[2:3], s[12:13], v[0:1]
	v_add_f64 v[202:203], v[50:51], v[44:45]
	v_mul_f64 v[212:213], v[160:161], s[30:31]
	v_mul_f64 v[249:250], v[160:161], s[26:27]
	;; [unrolled: 1-line block ×3, first 2 shown]
	v_add_f64 v[4:5], v[40:41], v[4:5]
	s_delay_alu instid0(VALU_DEP_1) | instskip(SKIP_1) | instid1(VALU_DEP_1)
	v_add_f64 v[4:5], v[6:7], v[4:5]
	v_fma_f64 v[6:7], v[214:215], s[12:13], -v[210:211]
	v_add_f64 v[6:7], v[42:43], v[6:7]
	s_delay_alu instid0(VALU_DEP_1)
	v_add_f64 v[6:7], v[8:9], v[6:7]
	v_mul_f64 v[8:9], v[116:117], s[28:29]
	scratch_store_b64 off, v[8:9], off offset:420 ; 8-byte Folded Spill
	v_fma_f64 v[8:9], v[170:171], s[14:15], v[8:9]
	s_clause 0x3
	scratch_store_b64 off, v[17:18], off offset:284
	scratch_store_b64 off, v[21:22], off offset:308
	;; [unrolled: 1-line block ×4, first 2 shown]
	v_add_f64 v[4:5], v[8:9], v[4:5]
	v_mul_f64 v[8:9], v[122:123], s[28:29]
	s_mov_b32 s29, 0x3fcea1e5
	s_mov_b32 s28, s34
	s_delay_alu instid0(SALU_CYCLE_1)
	v_mul_f64 v[220:221], v[200:201], s[28:29]
	v_mul_f64 v[232:233], v[152:153], s[28:29]
	;; [unrolled: 1-line block ×4, first 2 shown]
	scratch_store_b64 off, v[8:9], off offset:444 ; 8-byte Folded Spill
	v_fma_f64 v[8:9], v[182:183], s[14:15], -v[8:9]
	s_delay_alu instid0(VALU_DEP_1)
	v_add_f64 v[6:7], v[8:9], v[6:7]
	v_mul_f64 v[8:9], v[168:169], s[26:27]
	scratch_store_b64 off, v[8:9], off offset:436 ; 8-byte Folded Spill
	v_fma_f64 v[8:9], v[178:179], s[16:17], v[8:9]
	s_clause 0x3
	scratch_store_b64 off, v[25:26], off offset:340
	scratch_store_b64 off, v[29:30], off offset:372
	scratch_store_b64 off, v[27:28], off offset:356
	scratch_store_b64 off, v[31:32], off offset:388
	v_mul_f64 v[30:31], v[160:161], s[22:23]
	scratch_store_b64 off, v[33:34], off offset:404 ; 8-byte Folded Spill
	v_add_f64 v[4:5], v[8:9], v[4:5]
	v_mul_f64 v[8:9], v[97:98], s[26:27]
	scratch_store_b64 off, v[8:9], off offset:460 ; 8-byte Folded Spill
	v_fma_f64 v[8:9], v[190:191], s[16:17], -v[8:9]
	s_delay_alu instid0(VALU_DEP_1) | instskip(SKIP_3) | instid1(VALU_DEP_1)
	v_add_f64 v[6:7], v[8:9], v[6:7]
	v_mul_f64 v[8:9], v[200:201], s[30:31]
	scratch_store_b64 off, v[8:9], off offset:452 ; 8-byte Folded Spill
	v_fma_f64 v[8:9], v[186:187], s[18:19], v[8:9]
	v_add_f64 v[4:5], v[8:9], v[4:5]
	v_mul_f64 v[8:9], v[152:153], s[30:31]
	scratch_store_b64 off, v[8:9], off offset:476 ; 8-byte Folded Spill
	v_fma_f64 v[8:9], v[198:199], s[18:19], -v[8:9]
	s_delay_alu instid0(VALU_DEP_1) | instskip(SKIP_3) | instid1(VALU_DEP_1)
	v_add_f64 v[6:7], v[8:9], v[6:7]
	v_mul_f64 v[8:9], v[154:155], s[34:35]
	scratch_store_b64 off, v[8:9], off offset:468 ; 8-byte Folded Spill
	v_fma_f64 v[8:9], v[194:195], s[20:21], v[8:9]
	v_add_f64 v[128:129], v[8:9], v[4:5]
	v_mul_f64 v[4:5], v[160:161], s[34:35]
	scratch_store_b64 off, v[4:5], off offset:484 ; 8-byte Folded Spill
	v_fma_f64 v[4:5], v[202:203], s[20:21], -v[4:5]
	s_waitcnt_vscnt null, 0x0
	s_barrier
	buffer_gl0_inv
	scratch_store_b32 off, v64, off offset:304 ; 4-byte Folded Spill
	v_add_f64 v[130:131], v[4:5], v[6:7]
	v_fma_f64 v[4:5], v[2:3], s[10:11], v[253:254]
	s_delay_alu instid0(VALU_DEP_1) | instskip(SKIP_1) | instid1(VALU_DEP_1)
	v_add_f64 v[6:7], v[40:41], v[4:5]
	v_mul_f64 v[4:5], v[110:111], s[26:27]
	v_fma_f64 v[8:9], v[162:163], s[16:17], v[4:5]
	s_delay_alu instid0(VALU_DEP_1) | instskip(SKIP_2) | instid1(VALU_DEP_2)
	v_add_f64 v[10:11], v[8:9], v[6:7]
	v_fma_f64 v[6:7], v[214:215], s[10:11], -v[46:47]
	v_mul_f64 v[8:9], v[114:115], s[26:27]
	v_add_f64 v[6:7], v[42:43], v[6:7]
	s_delay_alu instid0(VALU_DEP_2) | instskip(NEXT) | instid1(VALU_DEP_1)
	v_fma_f64 v[12:13], v[174:175], s[16:17], -v[8:9]
	v_add_f64 v[14:15], v[12:13], v[6:7]
	v_mul_f64 v[6:7], v[116:117], s[34:35]
	s_delay_alu instid0(VALU_DEP_1) | instskip(NEXT) | instid1(VALU_DEP_1)
	v_fma_f64 v[12:13], v[170:171], s[20:21], v[6:7]
	v_add_f64 v[16:17], v[12:13], v[10:11]
	v_mul_f64 v[12:13], v[122:123], s[34:35]
	s_delay_alu instid0(VALU_DEP_1) | instskip(NEXT) | instid1(VALU_DEP_1)
	v_fma_f64 v[10:11], v[182:183], s[20:21], -v[12:13]
	v_add_f64 v[14:15], v[10:11], v[14:15]
	v_mul_f64 v[10:11], v[168:169], s[38:39]
	s_delay_alu instid0(VALU_DEP_1) | instskip(NEXT) | instid1(VALU_DEP_1)
	v_fma_f64 v[18:19], v[178:179], s[18:19], v[10:11]
	v_add_f64 v[18:19], v[18:19], v[16:17]
	v_mul_f64 v[16:17], v[97:98], s[38:39]
	s_delay_alu instid0(VALU_DEP_1) | instskip(NEXT) | instid1(VALU_DEP_1)
	;; [unrolled: 8-line block ×3, first 2 shown]
	v_fma_f64 v[18:19], v[198:199], s[14:15], -v[22:23]
	v_add_f64 v[20:21], v[18:19], v[20:21]
	v_mul_f64 v[18:19], v[154:155], s[22:23]
	s_delay_alu instid0(VALU_DEP_1) | instskip(NEXT) | instid1(VALU_DEP_1)
	v_fma_f64 v[26:27], v[194:195], s[12:13], v[18:19]
	v_add_f64 v[132:133], v[26:27], v[24:25]
	v_fma_f64 v[24:25], v[202:203], s[12:13], -v[30:31]
	s_delay_alu instid0(VALU_DEP_1) | instskip(SKIP_1) | instid1(VALU_DEP_1)
	v_add_f64 v[134:135], v[24:25], v[20:21]
	v_fma_f64 v[20:21], v[2:3], s[14:15], v[118:119]
	v_add_f64 v[24:25], v[40:41], v[20:21]
	v_mul_f64 v[20:21], v[110:111], s[34:35]
	s_delay_alu instid0(VALU_DEP_1) | instskip(NEXT) | instid1(VALU_DEP_1)
	v_fma_f64 v[26:27], v[162:163], s[20:21], v[20:21]
	v_add_f64 v[28:29], v[26:27], v[24:25]
	v_fma_f64 v[24:25], v[214:215], s[14:15], -v[120:121]
	v_mul_f64 v[26:27], v[114:115], s[34:35]
	s_delay_alu instid0(VALU_DEP_2) | instskip(NEXT) | instid1(VALU_DEP_2)
	v_add_f64 v[24:25], v[42:43], v[24:25]
	v_fma_f64 v[32:33], v[174:175], s[20:21], -v[26:27]
	s_delay_alu instid0(VALU_DEP_1) | instskip(SKIP_1) | instid1(VALU_DEP_1)
	v_add_f64 v[34:35], v[32:33], v[24:25]
	v_mul_f64 v[24:25], v[116:117], s[40:41]
	v_fma_f64 v[32:33], v[170:171], s[16:17], v[24:25]
	s_delay_alu instid0(VALU_DEP_1) | instskip(SKIP_1) | instid1(VALU_DEP_1)
	v_add_f64 v[36:37], v[32:33], v[28:29]
	v_mul_f64 v[32:33], v[122:123], s[40:41]
	v_fma_f64 v[28:29], v[182:183], s[16:17], -v[32:33]
	s_delay_alu instid0(VALU_DEP_1) | instskip(SKIP_1) | instid1(VALU_DEP_1)
	v_add_f64 v[34:35], v[28:29], v[34:35]
	v_mul_f64 v[28:29], v[168:169], s[22:23]
	v_fma_f64 v[38:39], v[178:179], s[12:13], v[28:29]
	s_delay_alu instid0(VALU_DEP_1) | instskip(SKIP_1) | instid1(VALU_DEP_1)
	v_add_f64 v[36:37], v[38:39], v[36:37]
	v_fma_f64 v[38:39], v[190:191], s[12:13], -v[204:205]
	v_add_f64 v[38:39], v[38:39], v[34:35]
	v_mul_f64 v[34:35], v[200:201], s[24:25]
	s_delay_alu instid0(VALU_DEP_1) | instskip(NEXT) | instid1(VALU_DEP_1)
	v_fma_f64 v[124:125], v[186:187], s[10:11], v[34:35]
	v_add_f64 v[124:125], v[124:125], v[36:37]
	v_fma_f64 v[36:37], v[198:199], s[10:11], -v[208:209]
	s_delay_alu instid0(VALU_DEP_1) | instskip(SKIP_1) | instid1(VALU_DEP_1)
	v_add_f64 v[38:39], v[36:37], v[38:39]
	v_mul_f64 v[36:37], v[154:155], s[30:31]
	v_fma_f64 v[126:127], v[194:195], s[18:19], v[36:37]
	s_delay_alu instid0(VALU_DEP_1) | instskip(SKIP_1) | instid1(VALU_DEP_1)
	v_add_f64 v[140:141], v[126:127], v[124:125]
	v_fma_f64 v[124:125], v[202:203], s[18:19], -v[212:213]
	v_add_f64 v[142:143], v[124:125], v[38:39]
	v_mul_f64 v[124:125], v[108:109], s[26:27]
	s_delay_alu instid0(VALU_DEP_1) | instskip(NEXT) | instid1(VALU_DEP_1)
	v_fma_f64 v[38:39], v[2:3], s[16:17], v[124:125]
	v_add_f64 v[126:127], v[40:41], v[38:39]
	v_mul_f64 v[38:39], v[110:111], s[38:39]
	s_mov_b32 s39, 0x3fea55e2
	s_mov_b32 s38, s24
	v_fma_f64 v[110:111], v[162:163], s[12:13], v[180:181]
	v_mul_f64 v[222:223], v[154:155], s[38:39]
	v_mul_f64 v[236:237], v[160:161], s[38:39]
	v_mul_f64 v[172:173], v[168:169], s[38:39]
	v_mul_f64 v[122:123], v[97:98], s[38:39]
	v_mul_f64 v[168:169], v[152:153], s[26:27]
	v_fma_f64 v[144:145], v[162:163], s[18:19], v[38:39]
	s_delay_alu instid0(VALU_DEP_3) | instskip(NEXT) | instid1(VALU_DEP_2)
	v_fma_f64 v[97:98], v[190:191], s[10:11], -v[122:123]
	v_add_f64 v[126:127], v[144:145], v[126:127]
	v_fma_f64 v[144:145], v[214:215], s[16:17], -v[176:177]
	s_delay_alu instid0(VALU_DEP_1) | instskip(NEXT) | instid1(VALU_DEP_1)
	v_add_f64 v[144:145], v[42:43], v[144:145]
	v_add_f64 v[144:145], v[146:147], v[144:145]
	v_fma_f64 v[146:147], v[170:171], s[12:13], v[206:207]
	s_delay_alu instid0(VALU_DEP_1) | instskip(SKIP_1) | instid1(VALU_DEP_1)
	v_add_f64 v[126:127], v[146:147], v[126:127]
	v_fma_f64 v[146:147], v[182:183], s[12:13], -v[224:225]
	v_add_f64 v[144:145], v[146:147], v[144:145]
	v_fma_f64 v[146:147], v[178:179], s[14:15], v[216:217]
	s_delay_alu instid0(VALU_DEP_1) | instskip(SKIP_1) | instid1(VALU_DEP_1)
	v_add_f64 v[126:127], v[146:147], v[126:127]
	v_fma_f64 v[146:147], v[190:191], s[14:15], -v[228:229]
	;; [unrolled: 5-line block ×4, first 2 shown]
	v_add_f64 v[146:147], v[126:127], v[146:147]
	v_fma_f64 v[126:127], v[2:3], s[18:19], v[192:193]
	s_delay_alu instid0(VALU_DEP_1) | instskip(NEXT) | instid1(VALU_DEP_1)
	v_add_f64 v[126:127], v[40:41], v[126:127]
	v_add_f64 v[126:127], v[148:149], v[126:127]
	v_mul_f64 v[148:149], v[112:113], s[30:31]
	v_fma_f64 v[112:113], v[174:175], s[12:13], -v[188:189]
	s_delay_alu instid0(VALU_DEP_2) | instskip(NEXT) | instid1(VALU_DEP_1)
	v_fma_f64 v[150:151], v[214:215], s[18:19], -v[148:149]
	v_add_f64 v[150:151], v[42:43], v[150:151]
	s_delay_alu instid0(VALU_DEP_1) | instskip(SKIP_1) | instid1(VALU_DEP_1)
	v_add_f64 v[150:151], v[156:157], v[150:151]
	v_fma_f64 v[156:157], v[170:171], s[10:11], v[230:231]
	v_add_f64 v[126:127], v[156:157], v[126:127]
	v_fma_f64 v[156:157], v[182:183], s[10:11], -v[245:246]
	s_delay_alu instid0(VALU_DEP_1) | instskip(SKIP_1) | instid1(VALU_DEP_1)
	v_add_f64 v[150:151], v[156:157], v[150:151]
	v_fma_f64 v[156:157], v[178:179], s[20:21], v[238:239]
	v_add_f64 v[126:127], v[156:157], v[126:127]
	v_fma_f64 v[156:157], v[190:191], s[20:21], -v[247:248]
	;; [unrolled: 5-line block ×4, first 2 shown]
	s_delay_alu instid0(VALU_DEP_1) | instskip(SKIP_3) | instid1(VALU_DEP_3)
	v_add_f64 v[158:159], v[126:127], v[150:151]
	v_mul_f64 v[150:151], v[108:109], s[34:35]
	v_mul_f64 v[126:127], v[116:117], s[30:31]
	v_mul_f64 v[116:117], v[200:201], s[26:27]
	v_fma_f64 v[108:109], v[2:3], s[20:21], v[150:151]
	s_delay_alu instid0(VALU_DEP_1) | instskip(NEXT) | instid1(VALU_DEP_1)
	v_add_f64 v[108:109], v[40:41], v[108:109]
	v_add_f64 v[108:109], v[110:111], v[108:109]
	v_fma_f64 v[110:111], v[214:215], s[20:21], -v[196:197]
	s_delay_alu instid0(VALU_DEP_1) | instskip(NEXT) | instid1(VALU_DEP_1)
	v_add_f64 v[110:111], v[42:43], v[110:111]
	v_add_f64 v[110:111], v[112:113], v[110:111]
	v_fma_f64 v[112:113], v[170:171], s[18:19], v[126:127]
	s_delay_alu instid0(VALU_DEP_1) | instskip(SKIP_1) | instid1(VALU_DEP_1)
	v_add_f64 v[108:109], v[112:113], v[108:109]
	v_fma_f64 v[112:113], v[182:183], s[18:19], -v[184:185]
	v_add_f64 v[110:111], v[112:113], v[110:111]
	v_fma_f64 v[112:113], v[178:179], s[10:11], v[172:173]
	s_delay_alu instid0(VALU_DEP_2) | instskip(NEXT) | instid1(VALU_DEP_2)
	v_add_f64 v[97:98], v[97:98], v[110:111]
	v_add_f64 v[108:109], v[112:113], v[108:109]
	v_fma_f64 v[110:111], v[186:187], s[16:17], v[116:117]
	s_delay_alu instid0(VALU_DEP_1) | instskip(SKIP_2) | instid1(VALU_DEP_2)
	v_add_f64 v[112:113], v[110:111], v[108:109]
	v_fma_f64 v[108:109], v[198:199], s[16:17], -v[168:169]
	v_mul_f64 v[110:111], v[160:161], s[36:37]
	v_add_f64 v[97:98], v[108:109], v[97:98]
	v_mul_f64 v[108:109], v[154:155], s[36:37]
	s_delay_alu instid0(VALU_DEP_1) | instskip(NEXT) | instid1(VALU_DEP_1)
	v_fma_f64 v[114:115], v[194:195], s[14:15], v[108:109]
	v_add_f64 v[112:113], v[114:115], v[112:113]
	v_fma_f64 v[114:115], v[202:203], s[14:15], -v[110:111]
	s_delay_alu instid0(VALU_DEP_1)
	v_add_f64 v[114:115], v[114:115], v[97:98]
	s_and_saveexec_b32 s1, s0
	s_cbranch_execz .LBB0_11
; %bb.10:
	v_mul_f64 v[154:155], v[2:3], s[16:17]
	v_mul_f64 v[152:153], v[2:3], s[20:21]
	v_mul_f64 v[97:98], v[214:215], s[20:21]
	v_mul_f64 v[160:161], v[2:3], s[18:19]
	v_add_f64 v[164:165], v[40:41], v[164:165]
	v_add_f64 v[166:167], v[42:43], v[166:167]
	v_add_f64 v[124:125], v[154:155], -v[124:125]
	v_mul_f64 v[154:155], v[214:215], s[14:15]
	v_add_f64 v[150:151], v[152:153], -v[150:151]
	v_mul_f64 v[152:153], v[214:215], s[18:19]
	v_add_f64 v[97:98], v[196:197], v[97:98]
	v_add_f64 v[160:161], v[160:161], -v[192:193]
	v_add_f64 v[124:125], v[40:41], v[124:125]
	v_add_f64 v[120:121], v[120:121], v[154:155]
	v_mul_f64 v[154:155], v[2:3], s[14:15]
	v_add_f64 v[148:149], v[148:149], v[152:153]
	v_mul_f64 v[152:153], v[214:215], s[16:17]
	s_delay_alu instid0(VALU_DEP_4) | instskip(NEXT) | instid1(VALU_DEP_4)
	v_add_f64 v[120:121], v[42:43], v[120:121]
	v_add_f64 v[118:119], v[154:155], -v[118:119]
	v_mul_f64 v[154:155], v[214:215], s[10:11]
	s_delay_alu instid0(VALU_DEP_4)
	v_add_f64 v[152:153], v[176:177], v[152:153]
	v_mul_f64 v[176:177], v[214:215], s[12:13]
	v_add_f64 v[148:149], v[42:43], v[148:149]
	v_add_f64 v[118:119], v[40:41], v[118:119]
	;; [unrolled: 1-line block ×3, first 2 shown]
	v_mul_f64 v[154:155], v[2:3], s[10:11]
	v_mul_f64 v[2:3], v[2:3], s[12:13]
	v_add_f64 v[176:177], v[210:211], v[176:177]
	s_delay_alu instid0(VALU_DEP_4) | instskip(NEXT) | instid1(VALU_DEP_4)
	v_add_f64 v[46:47], v[42:43], v[46:47]
	v_add_f64 v[154:155], v[154:155], -v[253:254]
	s_delay_alu instid0(VALU_DEP_4)
	v_add_f64 v[0:1], v[2:3], -v[0:1]
	v_add_f64 v[2:3], v[42:43], v[97:98]
	v_add_f64 v[97:98], v[40:41], v[150:151]
	;; [unrolled: 1-line block ×4, first 2 shown]
	v_mul_f64 v[176:177], v[182:183], s[18:19]
	v_add_f64 v[152:153], v[40:41], v[154:155]
	v_add_f64 v[154:155], v[40:41], v[160:161]
	v_mul_f64 v[160:161], v[162:163], s[12:13]
	v_add_f64 v[40:41], v[40:41], v[0:1]
	v_mul_f64 v[0:1], v[174:175], s[12:13]
	v_add_f64 v[176:177], v[184:185], v[176:177]
	s_delay_alu instid0(VALU_DEP_4) | instskip(SKIP_1) | instid1(VALU_DEP_4)
	v_add_f64 v[160:161], v[160:161], -v[180:181]
	v_mul_f64 v[180:181], v[170:171], s[18:19]
	v_add_f64 v[0:1], v[188:189], v[0:1]
	s_delay_alu instid0(VALU_DEP_2) | instskip(SKIP_1) | instid1(VALU_DEP_3)
	v_add_f64 v[126:127], v[180:181], -v[126:127]
	v_mul_f64 v[180:181], v[190:191], s[10:11]
	v_add_f64 v[0:1], v[0:1], v[2:3]
	v_add_f64 v[2:3], v[160:161], v[97:98]
	v_mul_f64 v[97:98], v[186:187], s[16:17]
	s_delay_alu instid0(VALU_DEP_4) | instskip(SKIP_2) | instid1(VALU_DEP_4)
	v_add_f64 v[122:123], v[122:123], v[180:181]
	v_mul_f64 v[180:181], v[178:179], s[10:11]
	v_add_f64 v[0:1], v[176:177], v[0:1]
	v_add_f64 v[97:98], v[97:98], -v[116:117]
	v_add_f64 v[2:3], v[126:127], v[2:3]
	v_mul_f64 v[116:117], v[202:203], s[14:15]
	v_add_f64 v[172:173], v[180:181], -v[172:173]
	v_mul_f64 v[180:181], v[198:199], s[16:17]
	v_add_f64 v[0:1], v[122:123], v[0:1]
	s_delay_alu instid0(VALU_DEP_4) | instskip(SKIP_3) | instid1(VALU_DEP_3)
	v_add_f64 v[110:111], v[110:111], v[116:117]
	v_mul_f64 v[116:117], v[194:195], s[14:15]
	v_add_f64 v[2:3], v[172:173], v[2:3]
	v_add_f64 v[168:169], v[168:169], v[180:181]
	v_add_f64 v[108:109], v[116:117], -v[108:109]
	scratch_load_b64 v[116:117], off, off offset:420 ; 8-byte Folded Reload
	v_add_f64 v[97:98], v[97:98], v[2:3]
	v_add_f64 v[0:1], v[168:169], v[0:1]
	s_delay_alu instid0(VALU_DEP_1) | instskip(NEXT) | instid1(VALU_DEP_3)
	v_add_f64 v[2:3], v[110:111], v[0:1]
	v_add_f64 v[0:1], v[108:109], v[97:98]
	v_mul_f64 v[97:98], v[174:175], s[16:17]
	s_clause 0x1
	scratch_load_b64 v[110:111], off, off offset:444
	scratch_load_b64 v[108:109], off, off offset:412
	v_add_f64 v[8:9], v[8:9], v[97:98]
	v_mul_f64 v[97:98], v[162:163], s[16:17]
	s_delay_alu instid0(VALU_DEP_2) | instskip(NEXT) | instid1(VALU_DEP_2)
	v_add_f64 v[8:9], v[8:9], v[46:47]
	v_add_f64 v[4:5], v[97:98], -v[4:5]
	v_mul_f64 v[97:98], v[182:183], s[20:21]
	v_mul_f64 v[46:47], v[186:187], s[14:15]
	s_delay_alu instid0(VALU_DEP_3) | instskip(NEXT) | instid1(VALU_DEP_3)
	v_add_f64 v[4:5], v[4:5], v[152:153]
	v_add_f64 v[12:13], v[12:13], v[97:98]
	v_mul_f64 v[97:98], v[170:171], s[20:21]
	s_delay_alu instid0(VALU_DEP_4) | instskip(NEXT) | instid1(VALU_DEP_3)
	v_add_f64 v[14:15], v[46:47], -v[14:15]
	v_add_f64 v[8:9], v[12:13], v[8:9]
	s_delay_alu instid0(VALU_DEP_3) | instskip(SKIP_2) | instid1(VALU_DEP_3)
	v_add_f64 v[6:7], v[97:98], -v[6:7]
	v_mul_f64 v[97:98], v[190:191], s[18:19]
	v_mul_f64 v[12:13], v[182:183], s[16:17]
	v_add_f64 v[4:5], v[6:7], v[4:5]
	s_delay_alu instid0(VALU_DEP_3)
	v_add_f64 v[16:17], v[16:17], v[97:98]
	v_mul_f64 v[97:98], v[178:179], s[18:19]
	v_mul_f64 v[6:7], v[202:203], s[12:13]
	v_add_f64 v[12:13], v[32:33], v[12:13]
	v_mul_f64 v[32:33], v[202:203], s[16:17]
	v_add_f64 v[8:9], v[16:17], v[8:9]
	v_add_f64 v[10:11], v[97:98], -v[10:11]
	v_mul_f64 v[97:98], v[198:199], s[14:15]
	v_add_f64 v[6:7], v[30:31], v[6:7]
	v_mul_f64 v[16:17], v[190:191], s[12:13]
	v_mul_f64 v[30:31], v[186:187], s[12:13]
	v_add_f64 v[32:33], v[249:250], v[32:33]
	v_add_f64 v[4:5], v[10:11], v[4:5]
	;; [unrolled: 1-line block ×3, first 2 shown]
	v_mul_f64 v[10:11], v[194:195], s[12:13]
	v_add_f64 v[16:17], v[204:205], v[16:17]
	v_mul_f64 v[97:98], v[162:163], s[10:11]
	v_add_f64 v[30:31], v[30:31], -v[241:242]
	v_add_f64 v[4:5], v[14:15], v[4:5]
	v_add_f64 v[8:9], v[22:23], v[8:9]
	v_add_f64 v[10:11], v[10:11], -v[18:19]
	v_mul_f64 v[14:15], v[170:171], s[16:17]
	v_mul_f64 v[18:19], v[178:179], s[12:13]
	;; [unrolled: 1-line block ×3, first 2 shown]
	s_waitcnt vmcnt(0)
	v_add_f64 v[97:98], v[97:98], -v[108:109]
	s_clause 0x1
	scratch_load_b64 v[108:109], off, off offset:292
	scratch_load_b64 v[46:47], off, off offset:268
	v_add_f64 v[6:7], v[6:7], v[8:9]
	v_add_f64 v[4:5], v[10:11], v[4:5]
	v_mul_f64 v[8:9], v[174:175], s[20:21]
	v_mul_f64 v[10:11], v[162:163], s[20:21]
	v_add_f64 v[14:15], v[14:15], -v[24:25]
	v_add_f64 v[18:19], v[18:19], -v[28:29]
	;; [unrolled: 1-line block ×3, first 2 shown]
	v_mul_f64 v[24:25], v[198:199], s[20:21]
	v_mul_f64 v[28:29], v[198:199], s[12:13]
	;; [unrolled: 1-line block ×3, first 2 shown]
	v_add_f64 v[40:41], v[97:98], v[40:41]
	v_add_f64 v[8:9], v[26:27], v[8:9]
	v_add_f64 v[10:11], v[10:11], -v[20:21]
	v_mul_f64 v[20:21], v[198:199], s[10:11]
	v_mul_f64 v[26:27], v[186:187], s[20:21]
	v_add_f64 v[24:25], v[232:233], v[24:25]
	v_add_f64 v[28:29], v[251:252], v[28:29]
	v_add_f64 v[34:35], v[34:35], -v[234:235]
	v_add_f64 v[8:9], v[8:9], v[120:121]
	v_add_f64 v[10:11], v[10:11], v[118:119]
	;; [unrolled: 1-line block ×3, first 2 shown]
	v_add_f64 v[26:27], v[26:27], -v[220:221]
	s_delay_alu instid0(VALU_DEP_4) | instskip(NEXT) | instid1(VALU_DEP_4)
	v_add_f64 v[8:9], v[12:13], v[8:9]
	v_add_f64 v[10:11], v[14:15], v[10:11]
	v_mul_f64 v[12:13], v[202:203], s[18:19]
	v_mul_f64 v[14:15], v[194:195], s[18:19]
	s_delay_alu instid0(VALU_DEP_4) | instskip(NEXT) | instid1(VALU_DEP_4)
	v_add_f64 v[8:9], v[16:17], v[8:9]
	v_add_f64 v[10:11], v[18:19], v[10:11]
	s_delay_alu instid0(VALU_DEP_4) | instskip(NEXT) | instid1(VALU_DEP_4)
	v_add_f64 v[12:13], v[212:213], v[12:13]
	v_add_f64 v[14:15], v[14:15], -v[36:37]
	v_mul_f64 v[36:37], v[174:175], s[10:11]
	v_mul_f64 v[18:19], v[170:171], s[12:13]
	v_add_f64 v[8:9], v[20:21], v[8:9]
	v_add_f64 v[16:17], v[22:23], v[10:11]
	v_mul_f64 v[20:21], v[190:191], s[14:15]
	v_mul_f64 v[22:23], v[178:179], s[14:15]
	v_add_f64 v[18:19], v[18:19], -v[206:207]
	v_add_f64 v[10:11], v[12:13], v[8:9]
	v_add_f64 v[8:9], v[14:15], v[16:17]
	v_mul_f64 v[14:15], v[162:163], s[18:19]
	v_mul_f64 v[12:13], v[174:175], s[18:19]
	;; [unrolled: 1-line block ×3, first 2 shown]
	v_add_f64 v[20:21], v[228:229], v[20:21]
	v_add_f64 v[22:23], v[22:23], -v[216:217]
	v_add_f64 v[14:15], v[14:15], -v[38:39]
	scratch_load_b64 v[38:39], off, off offset:428 ; 8-byte Folded Reload
	v_add_f64 v[12:13], v[218:219], v[12:13]
	v_add_f64 v[16:17], v[224:225], v[16:17]
	;; [unrolled: 1-line block ×3, first 2 shown]
	s_delay_alu instid0(VALU_DEP_3) | instskip(NEXT) | instid1(VALU_DEP_2)
	v_add_f64 v[12:13], v[12:13], v[150:151]
	v_add_f64 v[14:15], v[18:19], v[14:15]
	v_mul_f64 v[18:19], v[194:195], s[10:11]
	s_delay_alu instid0(VALU_DEP_3) | instskip(SKIP_1) | instid1(VALU_DEP_4)
	v_add_f64 v[12:13], v[16:17], v[12:13]
	v_mul_f64 v[16:17], v[202:203], s[10:11]
	v_add_f64 v[14:15], v[22:23], v[14:15]
	s_delay_alu instid0(VALU_DEP_4) | instskip(NEXT) | instid1(VALU_DEP_4)
	v_add_f64 v[18:19], v[18:19], -v[222:223]
	v_add_f64 v[12:13], v[20:21], v[12:13]
	s_delay_alu instid0(VALU_DEP_4)
	v_add_f64 v[16:17], v[236:237], v[16:17]
	v_mul_f64 v[22:23], v[170:171], s[10:11]
	v_add_f64 v[20:21], v[26:27], v[14:15]
	v_mul_f64 v[26:27], v[178:179], s[20:21]
	;; [unrolled: 2-line block ×3, first 2 shown]
	v_add_f64 v[22:23], v[22:23], -v[230:231]
	s_delay_alu instid0(VALU_DEP_4) | instskip(NEXT) | instid1(VALU_DEP_4)
	v_add_f64 v[26:27], v[26:27], -v[238:239]
	v_add_f64 v[14:15], v[16:17], v[12:13]
	v_add_f64 v[12:13], v[18:19], v[20:21]
	v_mul_f64 v[16:17], v[174:175], s[14:15]
	v_mul_f64 v[18:19], v[162:163], s[14:15]
	;; [unrolled: 1-line block ×3, first 2 shown]
	v_add_f64 v[24:25], v[247:248], v[24:25]
	s_delay_alu instid0(VALU_DEP_4) | instskip(NEXT) | instid1(VALU_DEP_4)
	v_add_f64 v[16:17], v[243:244], v[16:17]
	v_add_f64 v[18:19], v[18:19], -v[226:227]
	s_delay_alu instid0(VALU_DEP_4) | instskip(NEXT) | instid1(VALU_DEP_3)
	v_add_f64 v[20:21], v[245:246], v[20:21]
	v_add_f64 v[16:17], v[16:17], v[148:149]
	s_delay_alu instid0(VALU_DEP_3) | instskip(NEXT) | instid1(VALU_DEP_2)
	v_add_f64 v[18:19], v[18:19], v[154:155]
	v_add_f64 v[16:17], v[20:21], v[16:17]
	s_delay_alu instid0(VALU_DEP_2)
	v_add_f64 v[18:19], v[22:23], v[18:19]
	s_waitcnt vmcnt(0)
	v_add_f64 v[36:37], v[38:39], v[36:37]
	scratch_load_b64 v[38:39], off, off offset:276 ; 8-byte Folded Reload
	v_add_f64 v[16:17], v[24:25], v[16:17]
	v_add_f64 v[18:19], v[26:27], v[18:19]
	s_clause 0x1
	scratch_load_b64 v[24:25], off, off offset:324
	scratch_load_b64 v[26:27], off, off offset:308
	v_add_f64 v[36:37], v[36:37], v[42:43]
	v_add_f64 v[16:17], v[28:29], v[16:17]
	;; [unrolled: 1-line block ×3, first 2 shown]
	scratch_load_b64 v[18:19], off, off offset:4 ; 8-byte Folded Reload
	v_add_f64 v[46:47], v[164:165], v[46:47]
	s_waitcnt vmcnt(3)
	v_add_f64 v[38:39], v[166:167], v[38:39]
	s_delay_alu instid0(VALU_DEP_1) | instskip(SKIP_4) | instid1(VALU_DEP_1)
	v_add_f64 v[38:39], v[38:39], v[108:109]
	scratch_load_b64 v[108:109], off, off offset:284 ; 8-byte Folded Reload
	s_waitcnt vmcnt(0)
	v_add_f64 v[46:47], v[46:47], v[108:109]
	v_mul_f64 v[108:109], v[182:183], s[14:15]
	v_add_f64 v[108:109], v[110:111], v[108:109]
	scratch_load_b64 v[110:111], off, off offset:388 ; 8-byte Folded Reload
	v_add_f64 v[20:21], v[108:109], v[36:37]
	scratch_load_b64 v[36:37], off, off offset:356 ; 8-byte Folded Reload
	s_waitcnt vmcnt(1)
	v_add_f64 v[38:39], v[38:39], v[110:111]
	scratch_load_b64 v[110:111], off, off offset:372 ; 8-byte Folded Reload
	v_add_f64 v[38:39], v[38:39], v[52:53]
	scratch_load_b64 v[52:53], off, off offset:404 ; 8-byte Folded Reload
	v_add_f64 v[38:39], v[38:39], v[50:51]
	v_mul_f64 v[50:51], v[178:179], s[16:17]
	s_delay_alu instid0(VALU_DEP_2) | instskip(NEXT) | instid1(VALU_DEP_1)
	v_add_f64 v[38:39], v[38:39], v[44:45]
	v_add_f64 v[38:39], v[38:39], v[56:57]
	s_waitcnt vmcnt(2)
	s_delay_alu instid0(VALU_DEP_1) | instskip(SKIP_3) | instid1(VALU_DEP_2)
	v_add_f64 v[36:37], v[38:39], v[36:37]
	scratch_load_b64 v[38:39], off, off offset:340 ; 8-byte Folded Reload
	v_add_f64 v[24:25], v[36:37], v[24:25]
	v_mul_f64 v[36:37], v[194:195], s[20:21]
	v_add_f64 v[24:25], v[24:25], v[18:19]
	scratch_load_b64 v[18:19], off, off offset:252 ; 8-byte Folded Reload
	s_waitcnt vmcnt(3)
	v_add_f64 v[46:47], v[46:47], v[110:111]
	v_mul_f64 v[110:111], v[170:171], s[14:15]
	s_delay_alu instid0(VALU_DEP_1)
	v_add_f64 v[110:111], v[110:111], -v[116:117]
	scratch_load_b64 v[116:117], off, off offset:460 ; 8-byte Folded Reload
	s_waitcnt vmcnt(3)
	v_add_f64 v[46:47], v[46:47], v[52:53]
	v_mul_f64 v[52:53], v[190:191], s[16:17]
	v_add_f64 v[22:23], v[110:111], v[40:41]
	v_mul_f64 v[40:41], v[202:203], s[20:21]
	s_delay_alu instid0(VALU_DEP_4)
	v_add_f64 v[46:47], v[46:47], v[58:59]
	scratch_load_b64 v[58:59], off, off offset:436 ; 8-byte Folded Reload
	v_add_f64 v[44:45], v[46:47], v[48:49]
	scratch_load_b64 v[48:49], off, off offset:476 ; 8-byte Folded Reload
	v_mul_f64 v[46:47], v[198:199], s[18:19]
	v_add_f64 v[42:43], v[44:45], v[54:55]
	v_mul_f64 v[44:45], v[186:187], s[18:19]
	s_waitcnt vmcnt(4)
	s_delay_alu instid0(VALU_DEP_2)
	v_add_f64 v[38:39], v[42:43], v[38:39]
	scratch_load_b64 v[42:43], off, off offset:484 ; 8-byte Folded Reload
	v_add_f64 v[26:27], v[38:39], v[26:27]
	scratch_load_b64 v[38:39], off, off offset:468 ; 8-byte Folded Reload
	s_waitcnt vmcnt(4)
	v_add_f64 v[52:53], v[116:117], v[52:53]
	s_delay_alu instid0(VALU_DEP_1)
	v_add_f64 v[20:21], v[52:53], v[20:21]
	s_waitcnt vmcnt(2)
	v_add_f64 v[46:47], v[48:49], v[46:47]
	scratch_load_b64 v[48:49], off, off offset:452 ; 8-byte Folded Reload
	v_add_f64 v[50:51], v[50:51], -v[58:59]
	v_add_f64 v[20:21], v[46:47], v[20:21]
	s_delay_alu instid0(VALU_DEP_2)
	v_add_f64 v[22:23], v[50:51], v[22:23]
	s_waitcnt vmcnt(2)
	v_add_f64 v[40:41], v[42:43], v[40:41]
	s_waitcnt vmcnt(1)
	v_add_f64 v[36:37], v[36:37], -v[38:39]
	v_add_f64 v[38:39], v[26:27], v[18:19]
	v_add_f64 v[18:19], v[32:33], v[16:17]
	;; [unrolled: 1-line block ×4, first 2 shown]
	v_lshrrev_b32_e32 v28, 1, v68
	v_and_b32_e32 v29, 1, v68
	s_delay_alu instid0(VALU_DEP_2) | instskip(NEXT) | instid1(VALU_DEP_1)
	v_mul_u32_u24_e32 v28, 26, v28
	v_or_b32_e32 v28, v28, v29
	s_delay_alu instid0(VALU_DEP_1) | instskip(SKIP_3) | instid1(VALU_DEP_1)
	v_lshlrev_b32_e32 v28, 4, v28
	v_add_f64 v[24:25], v[38:39], v[69:70]
	s_waitcnt vmcnt(0)
	v_add_f64 v[44:45], v[44:45], -v[48:49]
	v_add_f64 v[30:31], v[44:45], v[22:23]
	v_add_f64 v[22:23], v[40:41], v[20:21]
	s_delay_alu instid0(VALU_DEP_2)
	v_add_f64 v[20:21], v[36:37], v[30:31]
	ds_store_b128 v28, v[156:159] offset:256
	ds_store_b128 v28, v[144:147] offset:288
	;; [unrolled: 1-line block ×11, first 2 shown]
	ds_store_b128 v28, v[24:27]
	ds_store_b128 v28, v[128:131] offset:384
.LBB0_11:
	s_or_b32 exec_lo, exec_lo, s1
	s_waitcnt lgkmcnt(0)
	s_waitcnt_vscnt null, 0x0
	s_barrier
	buffer_gl0_inv
	ds_load_b128 v[160:163], v255
	ds_load_b128 v[180:183], v255 offset:4576
	ds_load_b128 v[176:179], v255 offset:9152
	ds_load_b128 v[168:171], v255 offset:13728
	ds_load_b128 v[164:167], v255 offset:18304
	ds_load_b128 v[172:175], v255 offset:22880
	ds_load_b128 v[184:187], v255 offset:27456
	v_cmp_gt_u16_e64 s1, 0x68, v68
                                        ; implicit-def: $vgpr188_vgpr189
	s_delay_alu instid0(VALU_DEP_1)
	s_and_saveexec_b32 s10, s1
	s_cbranch_execz .LBB0_13
; %bb.12:
	ds_load_b128 v[112:115], v255 offset:2912
	ds_load_b128 v[156:159], v255 offset:7488
	;; [unrolled: 1-line block ×7, first 2 shown]
.LBB0_13:
	s_or_b32 exec_lo, exec_lo, s10
	v_and_b32_e32 v0, 0xff, v68
	v_and_b32_e32 v1, 0xffff, v99
	s_mov_b32 s12, 0x36b3c0b5
	s_mov_b32 s14, 0xe976ee23
	;; [unrolled: 1-line block ×3, first 2 shown]
	v_mul_lo_u16 v0, 0x4f, v0
	s_mov_b32 s13, 0x3fac98ee
	s_mov_b32 s15, 0xbfe11646
	;; [unrolled: 1-line block ×4, first 2 shown]
	v_lshrrev_b16 v64, 11, v0
	v_mul_u32_u24_e32 v0, 0x4ec5, v1
	s_mov_b32 s19, 0xbfe77f67
	s_mov_b32 s21, 0x3fd5d0dc
	s_mov_b32 s23, 0xbfd5d0dc
	v_mul_lo_u16 v1, v64, 26
	v_lshrrev_b32_e32 v24, 19, v0
	s_mov_b32 s22, s20
	s_delay_alu instid0(VALU_DEP_2) | instskip(NEXT) | instid1(VALU_DEP_2)
	v_sub_nc_u16 v0, v68, v1
	v_mul_lo_u16 v1, v24, 26
	s_delay_alu instid0(VALU_DEP_2) | instskip(NEXT) | instid1(VALU_DEP_2)
	v_and_b32_e32 v65, 0xff, v0
	v_sub_nc_u16 v25, v99, v1
	s_delay_alu instid0(VALU_DEP_2) | instskip(NEXT) | instid1(VALU_DEP_2)
	v_mad_u64_u32 v[0:1], null, 0x60, v65, s[2:3]
	v_mul_lo_u16 v2, 0x60, v25
	v_mad_u16 v24, 0xb6, v24, v25
	s_clause 0x3
	global_load_b128 v[124:127], v[0:1], off offset:384
	global_load_b128 v[120:123], v[0:1], off offset:400
	;; [unrolled: 1-line block ×4, first 2 shown]
	v_and_b32_e32 v2, 0xffff, v2
	s_delay_alu instid0(VALU_DEP_1) | instskip(NEXT) | instid1(VALU_DEP_1)
	v_add_co_u32 v2, s10, s2, v2
	v_add_co_ci_u32_e64 v3, null, s3, 0, s10
	s_clause 0x7
	global_load_b128 v[54:57], v[2:3], off offset:384
	global_load_b128 v[50:53], v[2:3], off offset:400
	;; [unrolled: 1-line block ×8, first 2 shown]
	s_mov_b32 s10, 0x37e14327
	s_mov_b32 s11, 0x3fe948f6
	scratch_store_b32 off, v24, off offset:252 ; 4-byte Folded Spill
	s_waitcnt vmcnt(11) lgkmcnt(5)
	v_mul_f64 v[0:1], v[182:183], v[126:127]
	v_mul_f64 v[2:3], v[180:181], v[126:127]
	s_waitcnt vmcnt(10) lgkmcnt(4)
	v_mul_f64 v[4:5], v[178:179], v[122:123]
	v_mul_f64 v[6:7], v[176:177], v[122:123]
	;; [unrolled: 3-line block ×3, first 2 shown]
	s_waitcnt vmcnt(8)
	v_mul_f64 v[12:13], v[174:175], v[110:111]
	v_mul_f64 v[14:15], v[172:173], v[110:111]
	s_waitcnt vmcnt(7)
	v_mul_f64 v[16:17], v[158:159], v[56:57]
	v_mul_f64 v[18:19], v[156:157], v[56:57]
	;; [unrolled: 3-line block ×9, first 2 shown]
	s_clause 0x5
	scratch_store_b128 off, v[54:57], off offset:324
	scratch_store_b128 off, v[50:53], off offset:308
	;; [unrolled: 1-line block ×6, first 2 shown]
	v_fma_f64 v[0:1], v[180:181], v[124:125], -v[0:1]
	v_fma_f64 v[2:3], v[182:183], v[124:125], v[2:3]
	v_fma_f64 v[4:5], v[176:177], v[120:121], -v[4:5]
	v_fma_f64 v[6:7], v[178:179], v[120:121], v[6:7]
	;; [unrolled: 2-line block ×12, first 2 shown]
	v_add_f64 v[50:51], v[0:1], v[8:9]
	v_add_f64 v[52:53], v[2:3], v[10:11]
	;; [unrolled: 1-line block ×4, first 2 shown]
	v_add_f64 v[4:5], v[4:5], -v[12:13]
	v_add_f64 v[6:7], v[6:7], -v[14:15]
	;; [unrolled: 1-line block ×4, first 2 shown]
	v_add_f64 v[58:59], v[16:17], v[26:27]
	v_add_f64 v[97:98], v[18:19], v[28:29]
	;; [unrolled: 1-line block ×4, first 2 shown]
	v_add_f64 v[20:21], v[20:21], -v[30:31]
	v_add_f64 v[22:23], v[22:23], -v[32:33]
	v_add_f64 v[132:133], v[34:35], v[38:39]
	v_add_f64 v[134:135], v[36:37], v[40:41]
	v_add_f64 v[12:13], v[38:39], -v[34:35]
	v_add_f64 v[14:15], v[40:41], -v[36:37]
	v_add_f64 v[30:31], v[42:43], v[46:47]
	v_add_f64 v[32:33], v[44:45], v[48:49]
	v_add_f64 v[34:35], v[46:47], -v[42:43]
	v_add_f64 v[36:37], v[48:49], -v[44:45]
	;; [unrolled: 1-line block ×4, first 2 shown]
	v_add_f64 v[8:9], v[54:55], v[50:51]
	v_add_f64 v[10:11], v[56:57], v[52:53]
	v_add_f64 v[140:141], v[4:5], -v[0:1]
	v_add_f64 v[142:143], v[6:7], -v[2:3]
	v_add_f64 v[26:27], v[128:129], v[58:59]
	v_add_f64 v[28:29], v[130:131], v[97:98]
	v_add_f64 v[38:39], v[50:51], -v[132:133]
	v_add_f64 v[40:41], v[52:53], -v[134:135]
	;; [unrolled: 1-line block ×12, first 2 shown]
	v_add_f64 v[4:5], v[12:13], v[4:5]
	v_add_f64 v[6:7], v[14:15], v[6:7]
	v_add_f64 v[12:13], v[0:1], -v[12:13]
	v_add_f64 v[14:15], v[2:3], -v[14:15]
	v_add_f64 v[20:21], v[34:35], v[20:21]
	v_add_f64 v[22:23], v[36:37], v[22:23]
	v_add_f64 v[34:35], v[16:17], -v[34:35]
	v_add_f64 v[36:37], v[18:19], -v[36:37]
	;; [unrolled: 4-line block ×4, first 2 shown]
	v_mul_f64 v[38:39], v[38:39], s[10:11]
	v_mul_f64 v[40:41], v[40:41], s[10:11]
	v_mul_f64 v[54:55], v[42:43], s[12:13]
	v_mul_f64 v[56:57], v[44:45], s[12:13]
	v_mul_f64 v[46:47], v[46:47], s[14:15]
	v_mul_f64 v[48:49], v[48:49], s[14:15]
	v_add_f64 v[58:59], v[128:129], -v[58:59]
	v_add_f64 v[97:98], v[130:131], -v[97:98]
	v_mul_f64 v[128:129], v[140:141], s[16:17]
	v_mul_f64 v[130:131], v[142:143], s[16:17]
	;; [unrolled: 1-line block ×6, first 2 shown]
	s_mov_b32 s14, 0xaaaaaaaa
	s_mov_b32 s15, 0xbff2aaaa
	v_add_f64 v[0:1], v[4:5], v[0:1]
	v_add_f64 v[2:3], v[6:7], v[2:3]
	;; [unrolled: 1-line block ×6, first 2 shown]
	v_mul_f64 v[160:161], v[132:133], s[12:13]
	v_mul_f64 v[162:163], v[134:135], s[12:13]
	v_add_f64 v[112:113], v[112:113], v[164:165]
	v_add_f64 v[114:115], v[114:115], v[166:167]
	v_mul_f64 v[30:31], v[30:31], s[10:11]
	v_mul_f64 v[32:33], v[32:33], s[10:11]
	s_mov_b32 s10, 0x5476071b
	s_mov_b32 s11, 0x3fe77f67
	;; [unrolled: 1-line block ×3, first 2 shown]
	v_fma_f64 v[4:5], v[42:43], s[12:13], v[38:39]
	v_fma_f64 v[18:19], v[44:45], s[12:13], v[40:41]
	v_fma_f64 v[20:21], v[50:51], s[10:11], -v[54:55]
	v_fma_f64 v[22:23], v[52:53], s[10:11], -v[56:57]
	v_fma_f64 v[42:43], v[12:13], s[20:21], v[46:47]
	v_fma_f64 v[44:45], v[14:15], s[20:21], v[48:49]
	v_fma_f64 v[46:47], v[140:141], s[16:17], -v[46:47]
	v_fma_f64 v[48:49], v[142:143], s[16:17], -v[48:49]
	;; [unrolled: 1-line block ×6, first 2 shown]
	v_fma_f64 v[54:55], v[34:35], s[20:21], v[144:145]
	v_fma_f64 v[56:57], v[36:37], s[20:21], v[146:147]
	v_fma_f64 v[130:131], v[158:159], s[16:17], -v[146:147]
	v_fma_f64 v[36:37], v[36:37], s[22:23], -v[170:171]
	;; [unrolled: 1-line block ×4, first 2 shown]
	v_fma_f64 v[8:9], v[8:9], s[14:15], v[26:27]
	v_fma_f64 v[10:11], v[10:11], s[14:15], v[28:29]
	v_fma_f64 v[50:51], v[58:59], s[10:11], -v[160:161]
	v_fma_f64 v[52:53], v[97:98], s[10:11], -v[162:163]
	s_mov_b32 s10, 0x37c3f68c
	s_mov_b32 s11, 0x3fdc38aa
	v_fma_f64 v[140:141], v[164:165], s[14:15], v[112:113]
	v_fma_f64 v[142:143], v[166:167], s[14:15], v[114:115]
	v_fma_f64 v[58:59], v[58:59], s[18:19], -v[30:31]
	v_fma_f64 v[97:98], v[97:98], s[18:19], -v[32:33]
	v_fma_f64 v[30:31], v[132:133], s[12:13], v[30:31]
	v_fma_f64 v[32:33], v[134:135], s[12:13], v[32:33]
	;; [unrolled: 1-line block ×11, first 2 shown]
	v_add_f64 v[144:145], v[4:5], v[8:9]
	v_add_f64 v[156:157], v[38:39], v[8:9]
	;; [unrolled: 1-line block ×3, first 2 shown]
	v_fma_f64 v[4:5], v[6:7], s[10:11], v[54:55]
	v_fma_f64 v[8:9], v[16:17], s[10:11], v[36:37]
	v_add_f64 v[146:147], v[18:19], v[10:11]
	v_add_f64 v[158:159], v[40:41], v[10:11]
	;; [unrolled: 1-line block ×3, first 2 shown]
	v_fma_f64 v[18:19], v[6:7], s[10:11], v[128:129]
	v_add_f64 v[6:7], v[50:51], v[140:141]
	v_add_f64 v[22:23], v[52:53], v[142:143]
	;; [unrolled: 1-line block ×6, first 2 shown]
	v_add_f64 v[50:51], v[144:145], -v[134:135]
	v_add_f64 v[30:31], v[134:135], v[144:145]
	v_add_f64 v[34:35], v[46:47], v[156:157]
	v_add_f64 v[38:39], v[160:161], -v[42:43]
	v_add_f64 v[42:43], v[42:43], v[160:161]
	v_add_f64 v[52:53], v[132:133], v[146:147]
	v_add_f64 v[32:33], v[146:147], -v[132:133]
	v_add_f64 v[36:37], v[158:159], -v[48:49]
	v_add_f64 v[40:41], v[44:45], v[162:163]
	v_add_f64 v[184:185], v[2:3], v[6:7]
	v_add_f64 v[186:187], v[22:23], -v[18:19]
	v_add_f64 v[180:181], v[10:11], -v[8:9]
	v_add_f64 v[182:183], v[14:15], v[20:21]
	v_add_f64 v[54:55], v[12:13], -v[0:1]
	v_add_f64 v[56:57], v[4:5], v[16:17]
	v_add_f64 v[44:45], v[162:163], -v[44:45]
	v_add_f64 v[46:47], v[156:157], -v[46:47]
	v_add_f64 v[48:49], v[48:49], v[158:159]
	scratch_store_b128 off, v[54:57], off offset:4 ; 16-byte Folded Spill
	v_and_b32_e32 v54, 0xffff, v64
	s_waitcnt_vscnt null, 0x0
	s_barrier
	buffer_gl0_inv
	v_mul_u32_u24_e32 v54, 0xb6, v54
	s_delay_alu instid0(VALU_DEP_1)
	v_add_lshl_u32 v54, v54, v65, 4
	ds_store_b128 v54, v[26:29]
	ds_store_b128 v54, v[30:33] offset:416
	ds_store_b128 v54, v[34:37] offset:832
	;; [unrolled: 1-line block ×5, first 2 shown]
	scratch_store_b32 off, v54, off offset:268 ; 4-byte Folded Spill
	ds_store_b128 v54, v[50:53] offset:2496
	s_and_saveexec_b32 s10, s1
	s_cbranch_execz .LBB0_15
; %bb.14:
	v_add_f64 v[14:15], v[20:21], -v[14:15]
	v_add_f64 v[20:21], v[0:1], v[12:13]
	scratch_load_b32 v0, off, off offset:252 ; 4-byte Folded Reload
	v_add_f64 v[18:19], v[18:19], v[22:23]
	v_add_f64 v[22:23], v[16:17], -v[4:5]
	v_add_f64 v[12:13], v[8:9], v[10:11]
	v_add_f64 v[16:17], v[6:7], -v[2:3]
	s_waitcnt vmcnt(0)
	v_and_b32_e32 v0, 0xffff, v0
	s_delay_alu instid0(VALU_DEP_1)
	v_lshlrev_b32_e32 v0, 4, v0
	ds_store_b128 v0, v[184:187] offset:1664
	ds_store_b128 v0, v[180:183] offset:2080
	ds_store_b128 v0, v[112:115]
	ds_store_b128 v0, v[20:23] offset:416
	ds_store_b128 v0, v[12:15] offset:832
	;; [unrolled: 1-line block ×3, first 2 shown]
	scratch_load_b128 v[1:4], off, off offset:4 ; 16-byte Folded Reload
	s_waitcnt vmcnt(0)
	ds_store_b128 v0, v[1:4] offset:2496
.LBB0_15:
	s_or_b32 exec_lo, exec_lo, s10
	v_mad_u64_u32 v[0:1], null, 0xa0, v68, s[2:3]
	s_waitcnt lgkmcnt(0)
	s_waitcnt_vscnt null, 0x0
	s_barrier
	buffer_gl0_inv
	s_mov_b32 s24, 0xf8bb580b
	s_mov_b32 s18, 0x43842ef
	;; [unrolled: 1-line block ×3, first 2 shown]
	s_clause 0x5
	global_load_b128 v[156:159], v[0:1], off offset:2880
	global_load_b128 v[144:147], v[0:1], off offset:2896
	;; [unrolled: 1-line block ×6, first 2 shown]
	ds_load_b128 v[2:5], v255 offset:2912
	ds_load_b128 v[6:9], v255 offset:5824
	;; [unrolled: 1-line block ×3, first 2 shown]
	ds_load_b128 v[24:27], v255
	ds_load_b128 v[14:17], v255 offset:11648
	ds_load_b128 v[18:21], v255 offset:14560
	s_mov_b32 s26, 0xfd768dbf
	s_mov_b32 s25, 0xbfe14ced
	;; [unrolled: 1-line block ×23, first 2 shown]
	s_waitcnt vmcnt(5) lgkmcnt(5)
	v_mul_f64 v[22:23], v[4:5], v[158:159]
	v_mul_f64 v[28:29], v[2:3], v[158:159]
	s_waitcnt vmcnt(4) lgkmcnt(4)
	v_mul_f64 v[30:31], v[8:9], v[146:147]
	v_mul_f64 v[32:33], v[6:7], v[146:147]
	;; [unrolled: 3-line block ×4, first 2 shown]
	s_waitcnt vmcnt(1) lgkmcnt(0)
	v_mul_f64 v[42:43], v[20:21], v[134:135]
	v_fma_f64 v[22:23], v[2:3], v[156:157], -v[22:23]
	v_fma_f64 v[28:29], v[4:5], v[156:157], v[28:29]
	v_fma_f64 v[200:201], v[6:7], v[144:145], -v[30:31]
	v_fma_f64 v[202:203], v[8:9], v[144:145], v[32:33]
	ds_load_b128 v[2:5], v255 offset:17472
	ds_load_b128 v[6:9], v255 offset:20384
	s_clause 0x1
	global_load_b128 v[164:167], v[0:1], off offset:2976
	global_load_b128 v[168:171], v[0:1], off offset:2992
	v_fma_f64 v[204:205], v[10:11], v[112:113], -v[34:35]
	v_fma_f64 v[206:207], v[12:13], v[112:113], v[36:37]
	v_mul_f64 v[30:31], v[18:19], v[134:135]
	v_fma_f64 v[208:209], v[14:15], v[128:129], -v[38:39]
	v_fma_f64 v[210:211], v[16:17], v[128:129], v[40:41]
	v_fma_f64 v[212:213], v[18:19], v[132:133], -v[42:43]
	s_waitcnt vmcnt(2) lgkmcnt(1)
	v_mul_f64 v[10:11], v[4:5], v[142:143]
	v_mul_f64 v[12:13], v[2:3], v[142:143]
	v_fma_f64 v[214:215], v[20:21], v[132:133], v[30:31]
	s_delay_alu instid0(VALU_DEP_3) | instskip(NEXT) | instid1(VALU_DEP_3)
	v_fma_f64 v[216:217], v[2:3], v[140:141], -v[10:11]
	v_fma_f64 v[218:219], v[4:5], v[140:141], v[12:13]
	s_delay_alu instid0(VALU_DEP_2) | instskip(NEXT) | instid1(VALU_DEP_2)
	v_add_f64 v[241:242], v[212:213], -v[216:217]
	v_add_f64 v[160:161], v[214:215], -v[218:219]
	v_add_f64 v[64:65], v[214:215], v[218:219]
	s_delay_alu instid0(VALU_DEP_3) | instskip(NEXT) | instid1(VALU_DEP_3)
	v_mul_f64 v[66:67], v[241:242], s[26:27]
	v_mul_f64 v[162:163], v[160:161], s[26:27]
	;; [unrolled: 1-line block ×4, first 2 shown]
	s_waitcnt vmcnt(1) lgkmcnt(0)
	v_mul_f64 v[2:3], v[8:9], v[166:167]
	s_delay_alu instid0(VALU_DEP_1) | instskip(SKIP_1) | instid1(VALU_DEP_1)
	v_fma_f64 v[220:221], v[6:7], v[164:165], -v[2:3]
	v_mul_f64 v[2:3], v[6:7], v[166:167]
	v_fma_f64 v[222:223], v[8:9], v[164:165], v[2:3]
	ds_load_b128 v[2:5], v255 offset:23296
	ds_load_b128 v[6:9], v255 offset:26208
	s_clause 0x1
	global_load_b128 v[172:175], v[0:1], off offset:3008
	global_load_b128 v[176:179], v[0:1], off offset:3024
	s_waitcnt vmcnt(2) lgkmcnt(1)
	v_mul_f64 v[10:11], v[4:5], v[170:171]
	s_delay_alu instid0(VALU_DEP_1) | instskip(SKIP_1) | instid1(VALU_DEP_1)
	v_fma_f64 v[224:225], v[2:3], v[168:169], -v[10:11]
	v_mul_f64 v[2:3], v[2:3], v[170:171]
	v_fma_f64 v[226:227], v[4:5], v[168:169], v[2:3]
	s_waitcnt vmcnt(1) lgkmcnt(0)
	v_mul_f64 v[0:1], v[8:9], v[174:175]
	s_delay_alu instid0(VALU_DEP_1) | instskip(SKIP_1) | instid1(VALU_DEP_2)
	v_fma_f64 v[228:229], v[6:7], v[172:173], -v[0:1]
	v_mul_f64 v[0:1], v[6:7], v[174:175]
	v_add_f64 v[243:244], v[200:201], v[228:229]
	s_delay_alu instid0(VALU_DEP_2) | instskip(SKIP_4) | instid1(VALU_DEP_2)
	v_fma_f64 v[230:231], v[8:9], v[172:173], v[0:1]
	ds_load_b128 v[0:3], v255 offset:29120
	s_waitcnt vmcnt(0) lgkmcnt(0)
	v_mul_f64 v[4:5], v[0:1], v[178:179]
	v_add_f64 v[247:248], v[202:203], v[230:231]
	v_fma_f64 v[232:233], v[2:3], v[176:177], v[4:5]
	v_mul_f64 v[2:3], v[2:3], v[178:179]
	s_delay_alu instid0(VALU_DEP_2) | instskip(NEXT) | instid1(VALU_DEP_2)
	v_add_f64 v[38:39], v[28:29], v[232:233]
	v_fma_f64 v[234:235], v[0:1], v[176:177], -v[2:3]
	v_add_f64 v[0:1], v[28:29], -v[232:233]
	s_delay_alu instid0(VALU_DEP_2) | instskip(NEXT) | instid1(VALU_DEP_2)
	v_add_f64 v[10:11], v[22:23], v[234:235]
	v_mul_f64 v[2:3], v[0:1], s[24:25]
	v_mul_f64 v[4:5], v[0:1], s[20:21]
	;; [unrolled: 1-line block ×5, first 2 shown]
	v_fma_f64 v[12:13], v[10:11], s[16:17], -v[2:3]
	v_fma_f64 v[2:3], v[10:11], s[16:17], v[2:3]
	v_fma_f64 v[14:15], v[10:11], s[12:13], -v[4:5]
	v_fma_f64 v[4:5], v[10:11], s[12:13], v[4:5]
	v_fma_f64 v[16:17], v[10:11], s[14:15], -v[6:7]
	v_fma_f64 v[6:7], v[10:11], s[14:15], v[6:7]
	v_fma_f64 v[18:19], v[10:11], s[10:11], -v[8:9]
	v_fma_f64 v[8:9], v[10:11], s[10:11], v[8:9]
	v_fma_f64 v[36:37], v[10:11], s[2:3], -v[0:1]
	v_fma_f64 v[0:1], v[10:11], s[2:3], v[0:1]
	v_add_f64 v[10:11], v[22:23], -v[234:235]
	v_add_f64 v[22:23], v[24:25], v[22:23]
	v_add_f64 v[12:13], v[24:25], v[12:13]
	;; [unrolled: 1-line block ×6, first 2 shown]
	v_mul_f64 v[20:21], v[10:11], s[24:25]
	v_mul_f64 v[30:31], v[10:11], s[20:21]
	;; [unrolled: 1-line block ×5, first 2 shown]
	scratch_store_b64 off, v[22:23], off offset:276 ; 8-byte Folded Spill
	v_add_f64 v[22:23], v[26:27], v[28:29]
	scratch_store_b64 off, v[2:3], off offset:292 ; 8-byte Folded Spill
	v_fma_f64 v[40:41], v[38:39], s[16:17], v[20:21]
	v_fma_f64 v[42:43], v[38:39], s[12:13], v[30:31]
	v_fma_f64 v[30:31], v[38:39], s[12:13], -v[30:31]
	v_fma_f64 v[20:21], v[38:39], s[16:17], -v[20:21]
	v_fma_f64 v[44:45], v[38:39], s[14:15], v[32:33]
	v_fma_f64 v[32:33], v[38:39], s[14:15], -v[32:33]
	v_fma_f64 v[46:47], v[38:39], s[10:11], v[34:35]
	;; [unrolled: 2-line block ×3, first 2 shown]
	v_fma_f64 v[10:11], v[38:39], s[2:3], -v[10:11]
	scratch_store_b64 off, v[22:23], off offset:284 ; 8-byte Folded Spill
	v_add_f64 v[34:35], v[24:25], v[6:7]
	v_add_f64 v[22:23], v[24:25], v[8:9]
	;; [unrolled: 1-line block ×7, first 2 shown]
	v_add_f64 v[24:25], v[202:203], -v[230:231]
	v_add_f64 v[190:191], v[26:27], v[20:21]
	v_add_f64 v[42:43], v[26:27], v[42:43]
	;; [unrolled: 1-line block ×8, first 2 shown]
	v_add_f64 v[26:27], v[200:201], -v[228:229]
	v_add_f64 v[46:47], v[206:207], -v[226:227]
	;; [unrolled: 1-line block ×4, first 2 shown]
	v_mul_f64 v[245:246], v[24:25], s[20:21]
	v_mul_f64 v[249:250], v[26:27], s[20:21]
	;; [unrolled: 1-line block ×3, first 2 shown]
	s_mov_b32 s21, 0x3fed1bb4
	s_delay_alu instid0(VALU_DEP_3) | instskip(NEXT) | instid1(VALU_DEP_1)
	v_fma_f64 v[0:1], v[243:244], s[12:13], -v[245:246]
	v_add_f64 v[4:5], v[0:1], v[12:13]
	s_delay_alu instid0(VALU_DEP_4) | instskip(NEXT) | instid1(VALU_DEP_1)
	v_fma_f64 v[0:1], v[247:248], s[12:13], v[249:250]
	v_add_f64 v[8:9], v[0:1], v[52:53]
	v_add_f64 v[0:1], v[204:205], v[224:225]
	v_add_f64 v[52:53], v[208:209], -v[220:221]
	s_delay_alu instid0(VALU_DEP_2) | instskip(NEXT) | instid1(VALU_DEP_1)
	v_fma_f64 v[6:7], v[0:1], s[14:15], -v[2:3]
	v_add_f64 v[12:13], v[6:7], v[4:5]
	v_add_f64 v[4:5], v[206:207], v[226:227]
	v_mul_f64 v[6:7], v[48:49], s[18:19]
	s_delay_alu instid0(VALU_DEP_1) | instskip(NEXT) | instid1(VALU_DEP_1)
	v_fma_f64 v[10:11], v[4:5], s[14:15], v[6:7]
	v_add_f64 v[36:37], v[10:11], v[8:9]
	v_add_f64 v[8:9], v[208:209], v[220:221]
	v_mul_f64 v[10:11], v[50:51], s[22:23]
	s_delay_alu instid0(VALU_DEP_1) | instskip(NEXT) | instid1(VALU_DEP_1)
	v_fma_f64 v[14:15], v[8:9], s[10:11], -v[10:11]
	v_add_f64 v[44:45], v[14:15], v[12:13]
	v_add_f64 v[12:13], v[210:211], v[222:223]
	v_mul_f64 v[14:15], v[52:53], s[22:23]
	s_delay_alu instid0(VALU_DEP_1) | instskip(NEXT) | instid1(VALU_DEP_1)
	v_fma_f64 v[97:98], v[12:13], s[10:11], v[14:15]
	v_add_f64 v[97:98], v[97:98], v[36:37]
	v_add_f64 v[36:37], v[212:213], v[216:217]
	s_delay_alu instid0(VALU_DEP_1) | instskip(NEXT) | instid1(VALU_DEP_1)
	v_fma_f64 v[192:193], v[36:37], s[2:3], -v[162:163]
	v_add_f64 v[192:193], v[192:193], v[44:45]
	v_fma_f64 v[44:45], v[64:65], s[2:3], v[66:67]
	s_delay_alu instid0(VALU_DEP_1) | instskip(SKIP_1) | instid1(VALU_DEP_1)
	v_add_f64 v[194:195], v[44:45], v[97:98]
	v_mul_f64 v[97:98], v[24:25], s[22:23]
	v_fma_f64 v[44:45], v[243:244], s[10:11], -v[97:98]
	v_fma_f64 v[97:98], v[243:244], s[10:11], v[97:98]
	s_delay_alu instid0(VALU_DEP_2) | instskip(SKIP_1) | instid1(VALU_DEP_3)
	v_add_f64 v[44:45], v[44:45], v[54:55]
	v_mul_f64 v[54:55], v[26:27], s[22:23]
	v_add_f64 v[56:57], v[97:98], v[56:57]
	s_delay_alu instid0(VALU_DEP_2) | instskip(SKIP_1) | instid1(VALU_DEP_2)
	v_fma_f64 v[196:197], v[247:248], s[10:11], v[54:55]
	v_fma_f64 v[54:55], v[247:248], s[10:11], -v[54:55]
	v_add_f64 v[42:43], v[196:197], v[42:43]
	v_mul_f64 v[196:197], v[46:47], s[34:35]
	s_delay_alu instid0(VALU_DEP_3) | instskip(NEXT) | instid1(VALU_DEP_2)
	v_add_f64 v[54:55], v[54:55], v[58:59]
	v_fma_f64 v[198:199], v[0:1], s[2:3], -v[196:197]
	v_fma_f64 v[58:59], v[0:1], s[2:3], v[196:197]
	s_delay_alu instid0(VALU_DEP_2) | instskip(SKIP_1) | instid1(VALU_DEP_3)
	v_add_f64 v[44:45], v[198:199], v[44:45]
	v_mul_f64 v[198:199], v[48:49], s[34:35]
	v_add_f64 v[56:57], v[58:59], v[56:57]
	s_delay_alu instid0(VALU_DEP_2) | instskip(SKIP_1) | instid1(VALU_DEP_2)
	v_fma_f64 v[236:237], v[4:5], s[2:3], v[198:199]
	v_fma_f64 v[58:59], v[4:5], s[2:3], -v[198:199]
	v_add_f64 v[42:43], v[236:237], v[42:43]
	v_mul_f64 v[236:237], v[50:51], s[30:31]
	s_delay_alu instid0(VALU_DEP_3) | instskip(NEXT) | instid1(VALU_DEP_2)
	v_add_f64 v[54:55], v[58:59], v[54:55]
	v_fma_f64 v[238:239], v[8:9], s[14:15], -v[236:237]
	v_fma_f64 v[58:59], v[8:9], s[14:15], v[236:237]
	v_mul_f64 v[236:237], v[160:161], s[22:23]
	s_delay_alu instid0(VALU_DEP_3) | instskip(SKIP_1) | instid1(VALU_DEP_4)
	v_add_f64 v[44:45], v[238:239], v[44:45]
	v_mul_f64 v[238:239], v[52:53], s[30:31]
	v_add_f64 v[56:57], v[58:59], v[56:57]
	s_delay_alu instid0(VALU_DEP_2) | instskip(SKIP_2) | instid1(VALU_DEP_3)
	v_fma_f64 v[188:189], v[12:13], s[14:15], v[238:239]
	v_fma_f64 v[58:59], v[12:13], s[14:15], -v[238:239]
	v_mul_f64 v[238:239], v[241:242], s[22:23]
	v_add_f64 v[188:189], v[188:189], v[42:43]
	v_fma_f64 v[42:43], v[36:37], s[16:17], -v[68:69]
	s_delay_alu instid0(VALU_DEP_4) | instskip(SKIP_2) | instid1(VALU_DEP_4)
	v_add_f64 v[54:55], v[58:59], v[54:55]
	v_fma_f64 v[58:59], v[36:37], s[16:17], v[68:69]
	v_fma_f64 v[68:69], v[64:65], s[16:17], -v[70:71]
	v_add_f64 v[42:43], v[42:43], v[44:45]
	v_fma_f64 v[44:45], v[64:65], s[16:17], v[70:71]
	s_delay_alu instid0(VALU_DEP_4) | instskip(NEXT) | instid1(VALU_DEP_4)
	v_add_f64 v[196:197], v[58:59], v[56:57]
	v_add_f64 v[198:199], v[68:69], v[54:55]
	v_mul_f64 v[54:55], v[24:25], s[34:35]
	s_delay_alu instid0(VALU_DEP_4) | instskip(NEXT) | instid1(VALU_DEP_2)
	v_add_f64 v[44:45], v[44:45], v[188:189]
	v_fma_f64 v[56:57], v[243:244], s[2:3], -v[54:55]
	v_fma_f64 v[54:55], v[243:244], s[2:3], v[54:55]
	s_delay_alu instid0(VALU_DEP_2) | instskip(SKIP_1) | instid1(VALU_DEP_3)
	v_add_f64 v[40:41], v[56:57], v[40:41]
	v_mul_f64 v[56:57], v[26:27], s[34:35]
	v_add_f64 v[34:35], v[54:55], v[34:35]
	s_delay_alu instid0(VALU_DEP_2) | instskip(SKIP_2) | instid1(VALU_DEP_3)
	v_fma_f64 v[58:59], v[247:248], s[2:3], v[56:57]
	v_fma_f64 v[54:55], v[247:248], s[2:3], -v[56:57]
	v_fma_f64 v[56:57], v[64:65], s[10:11], -v[238:239]
	v_add_f64 v[38:39], v[58:59], v[38:39]
	v_mul_f64 v[58:59], v[46:47], s[20:21]
	s_delay_alu instid0(VALU_DEP_4) | instskip(NEXT) | instid1(VALU_DEP_2)
	v_add_f64 v[32:33], v[54:55], v[32:33]
	v_fma_f64 v[68:69], v[0:1], s[12:13], -v[58:59]
	v_fma_f64 v[54:55], v[0:1], s[12:13], v[58:59]
	s_delay_alu instid0(VALU_DEP_2) | instskip(SKIP_1) | instid1(VALU_DEP_3)
	v_add_f64 v[40:41], v[68:69], v[40:41]
	v_mul_f64 v[68:69], v[48:49], s[20:21]
	v_add_f64 v[34:35], v[54:55], v[34:35]
	s_delay_alu instid0(VALU_DEP_2) | instskip(SKIP_1) | instid1(VALU_DEP_2)
	v_fma_f64 v[70:71], v[4:5], s[12:13], v[68:69]
	v_fma_f64 v[54:55], v[4:5], s[12:13], -v[68:69]
	v_add_f64 v[38:39], v[70:71], v[38:39]
	v_mul_f64 v[70:71], v[50:51], s[24:25]
	s_delay_alu instid0(VALU_DEP_3) | instskip(NEXT) | instid1(VALU_DEP_2)
	v_add_f64 v[32:33], v[54:55], v[32:33]
	v_fma_f64 v[97:98], v[8:9], s[16:17], -v[70:71]
	v_fma_f64 v[54:55], v[8:9], s[16:17], v[70:71]
	s_delay_alu instid0(VALU_DEP_2) | instskip(SKIP_1) | instid1(VALU_DEP_3)
	v_add_f64 v[40:41], v[97:98], v[40:41]
	v_mul_f64 v[97:98], v[52:53], s[24:25]
	v_add_f64 v[34:35], v[54:55], v[34:35]
	s_delay_alu instid0(VALU_DEP_2) | instskip(SKIP_1) | instid1(VALU_DEP_2)
	v_fma_f64 v[54:55], v[12:13], s[16:17], -v[97:98]
	v_fma_f64 v[188:189], v[12:13], s[16:17], v[97:98]
	v_add_f64 v[54:55], v[54:55], v[32:33]
	v_fma_f64 v[32:33], v[36:37], s[10:11], v[236:237]
	s_delay_alu instid0(VALU_DEP_3) | instskip(SKIP_2) | instid1(VALU_DEP_4)
	v_add_f64 v[188:189], v[188:189], v[38:39]
	v_fma_f64 v[38:39], v[36:37], s[10:11], -v[236:237]
	v_mul_f64 v[236:237], v[160:161], s[20:21]
	v_add_f64 v[32:33], v[32:33], v[34:35]
	v_add_f64 v[34:35], v[56:57], v[54:55]
	v_mul_f64 v[54:55], v[24:25], s[30:31]
	v_add_f64 v[38:39], v[38:39], v[40:41]
	v_fma_f64 v[40:41], v[64:65], s[10:11], v[238:239]
	v_mul_f64 v[238:239], v[241:242], s[20:21]
	v_mul_f64 v[24:25], v[24:25], s[28:29]
	v_fma_f64 v[56:57], v[243:244], s[14:15], -v[54:55]
	v_fma_f64 v[54:55], v[243:244], s[14:15], v[54:55]
	v_add_f64 v[40:41], v[40:41], v[188:189]
	s_delay_alu instid0(VALU_DEP_3) | instskip(SKIP_1) | instid1(VALU_DEP_4)
	v_add_f64 v[30:31], v[56:57], v[30:31]
	v_mul_f64 v[56:57], v[26:27], s[30:31]
	v_add_f64 v[22:23], v[54:55], v[22:23]
	v_mul_f64 v[26:27], v[26:27], s[28:29]
	s_delay_alu instid0(VALU_DEP_3) | instskip(SKIP_2) | instid1(VALU_DEP_3)
	v_fma_f64 v[58:59], v[247:248], s[14:15], v[56:57]
	v_fma_f64 v[54:55], v[247:248], s[14:15], -v[56:57]
	v_fma_f64 v[56:57], v[64:65], s[12:13], -v[238:239]
	v_add_f64 v[28:29], v[58:59], v[28:29]
	v_mul_f64 v[58:59], v[46:47], s[24:25]
	s_delay_alu instid0(VALU_DEP_4) | instskip(SKIP_1) | instid1(VALU_DEP_3)
	v_add_f64 v[20:21], v[54:55], v[20:21]
	v_mul_f64 v[46:47], v[46:47], s[22:23]
	v_fma_f64 v[68:69], v[0:1], s[16:17], -v[58:59]
	v_fma_f64 v[54:55], v[0:1], s[16:17], v[58:59]
	v_mul_f64 v[58:59], v[241:242], s[18:19]
	s_delay_alu instid0(VALU_DEP_3) | instskip(SKIP_1) | instid1(VALU_DEP_4)
	v_add_f64 v[30:31], v[68:69], v[30:31]
	v_mul_f64 v[68:69], v[48:49], s[24:25]
	v_add_f64 v[22:23], v[54:55], v[22:23]
	v_mul_f64 v[48:49], v[48:49], s[22:23]
	s_delay_alu instid0(VALU_DEP_3) | instskip(SKIP_1) | instid1(VALU_DEP_2)
	v_fma_f64 v[70:71], v[4:5], s[16:17], v[68:69]
	v_fma_f64 v[54:55], v[4:5], s[16:17], -v[68:69]
	v_add_f64 v[28:29], v[70:71], v[28:29]
	v_mul_f64 v[70:71], v[50:51], s[26:27]
	s_delay_alu instid0(VALU_DEP_3) | instskip(SKIP_1) | instid1(VALU_DEP_3)
	v_add_f64 v[20:21], v[54:55], v[20:21]
	v_mul_f64 v[50:51], v[50:51], s[20:21]
	v_fma_f64 v[97:98], v[8:9], s[2:3], -v[70:71]
	v_fma_f64 v[54:55], v[8:9], s[2:3], v[70:71]
	s_delay_alu instid0(VALU_DEP_2) | instskip(SKIP_1) | instid1(VALU_DEP_3)
	v_add_f64 v[30:31], v[97:98], v[30:31]
	v_mul_f64 v[97:98], v[52:53], s[26:27]
	v_add_f64 v[22:23], v[54:55], v[22:23]
	v_mul_f64 v[52:53], v[52:53], s[20:21]
	s_delay_alu instid0(VALU_DEP_3) | instskip(SKIP_1) | instid1(VALU_DEP_2)
	v_fma_f64 v[54:55], v[12:13], s[2:3], -v[97:98]
	v_fma_f64 v[188:189], v[12:13], s[2:3], v[97:98]
	v_add_f64 v[54:55], v[54:55], v[20:21]
	v_fma_f64 v[20:21], v[36:37], s[12:13], v[236:237]
	s_delay_alu instid0(VALU_DEP_3) | instskip(SKIP_1) | instid1(VALU_DEP_3)
	v_add_f64 v[188:189], v[188:189], v[28:29]
	v_fma_f64 v[28:29], v[36:37], s[12:13], -v[236:237]
	v_add_f64 v[20:21], v[20:21], v[22:23]
	v_add_f64 v[22:23], v[56:57], v[54:55]
	v_fma_f64 v[54:55], v[243:244], s[16:17], -v[24:25]
	v_fma_f64 v[24:25], v[243:244], s[16:17], v[24:25]
	v_mul_f64 v[56:57], v[160:161], s[18:19]
	v_add_f64 v[28:29], v[28:29], v[30:31]
	v_fma_f64 v[30:31], v[64:65], s[12:13], v[238:239]
	v_add_f64 v[18:19], v[54:55], v[18:19]
	v_fma_f64 v[54:55], v[247:248], s[16:17], v[26:27]
	v_add_f64 v[24:25], v[24:25], v[253:254]
	v_fma_f64 v[26:27], v[247:248], s[16:17], -v[26:27]
	v_add_f64 v[30:31], v[30:31], v[188:189]
	s_delay_alu instid0(VALU_DEP_4)
	v_add_f64 v[16:17], v[54:55], v[16:17]
	v_fma_f64 v[54:55], v[0:1], s[10:11], -v[46:47]
	v_fma_f64 v[46:47], v[0:1], s[10:11], v[46:47]
	v_fma_f64 v[0:1], v[0:1], s[14:15], v[2:3]
	v_fma_f64 v[2:3], v[4:5], s[14:15], -v[6:7]
	v_add_f64 v[26:27], v[26:27], v[251:252]
	v_add_f64 v[18:19], v[54:55], v[18:19]
	v_fma_f64 v[54:55], v[4:5], s[10:11], v[48:49]
	v_add_f64 v[24:25], v[46:47], v[24:25]
	v_fma_f64 v[46:47], v[4:5], s[10:11], -v[48:49]
	scratch_load_b64 v[4:5], off, off offset:292 ; 8-byte Folded Reload
	v_fma_f64 v[48:49], v[64:65], s[14:15], -v[58:59]
	v_add_f64 v[16:17], v[54:55], v[16:17]
	v_fma_f64 v[54:55], v[8:9], s[12:13], -v[50:51]
	v_add_f64 v[26:27], v[46:47], v[26:27]
	v_fma_f64 v[46:47], v[8:9], s[12:13], v[50:51]
	v_fma_f64 v[8:9], v[8:9], s[10:11], v[10:11]
	v_fma_f64 v[10:11], v[12:13], s[10:11], -v[14:15]
	v_add_f64 v[18:19], v[54:55], v[18:19]
	v_fma_f64 v[54:55], v[12:13], s[12:13], v[52:53]
	v_add_f64 v[24:25], v[46:47], v[24:25]
	v_fma_f64 v[46:47], v[12:13], s[12:13], -v[52:53]
	s_delay_alu instid0(VALU_DEP_3) | instskip(SKIP_1) | instid1(VALU_DEP_3)
	v_add_f64 v[54:55], v[54:55], v[16:17]
	v_fma_f64 v[16:17], v[36:37], s[14:15], -v[56:57]
	v_add_f64 v[26:27], v[46:47], v[26:27]
	v_fma_f64 v[46:47], v[36:37], s[14:15], v[56:57]
	s_delay_alu instid0(VALU_DEP_3) | instskip(NEXT) | instid1(VALU_DEP_3)
	v_add_f64 v[16:17], v[16:17], v[18:19]
	v_add_f64 v[26:27], v[48:49], v[26:27]
	s_delay_alu instid0(VALU_DEP_3) | instskip(SKIP_3) | instid1(VALU_DEP_2)
	v_add_f64 v[24:25], v[46:47], v[24:25]
	v_fma_f64 v[46:47], v[243:244], s[12:13], v[245:246]
	v_fma_f64 v[48:49], v[247:248], s[12:13], -v[249:250]
	v_fma_f64 v[18:19], v[64:65], s[14:15], v[58:59]
	v_add_f64 v[6:7], v[48:49], v[190:191]
	s_delay_alu instid0(VALU_DEP_2) | instskip(NEXT) | instid1(VALU_DEP_2)
	v_add_f64 v[18:19], v[18:19], v[54:55]
	v_add_f64 v[2:3], v[2:3], v[6:7]
	v_fma_f64 v[6:7], v[64:65], s[2:3], -v[66:67]
	s_delay_alu instid0(VALU_DEP_2) | instskip(NEXT) | instid1(VALU_DEP_1)
	v_add_f64 v[2:3], v[10:11], v[2:3]
	v_add_f64 v[190:191], v[6:7], v[2:3]
	scratch_load_b64 v[2:3], off, off offset:284 ; 8-byte Folded Reload
	s_waitcnt vmcnt(1)
	v_add_f64 v[4:5], v[46:47], v[4:5]
	s_delay_alu instid0(VALU_DEP_1) | instskip(SKIP_1) | instid1(VALU_DEP_2)
	v_add_f64 v[0:1], v[0:1], v[4:5]
	v_fma_f64 v[4:5], v[36:37], s[2:3], v[162:163]
	v_add_f64 v[0:1], v[8:9], v[0:1]
	s_delay_alu instid0(VALU_DEP_1) | instskip(SKIP_2) | instid1(VALU_DEP_1)
	v_add_f64 v[188:189], v[4:5], v[0:1]
	scratch_load_b64 v[0:1], off, off offset:276 ; 8-byte Folded Reload
	v_add_co_u32 v4, s2, 0x7000, v240
	v_add_co_ci_u32_e64 v5, s2, 0, v96, s2
	ds_store_b128 v255, v[42:45] offset:5824
	ds_store_b128 v255, v[38:41] offset:8736
	ds_store_b128 v255, v[28:31] offset:11648
	ds_store_b128 v255, v[16:19] offset:14560
	ds_store_b128 v255, v[24:27] offset:17472
	ds_store_b128 v255, v[20:23] offset:20384
	v_add_co_u32 v12, s2, 0xe000, v240
	s_delay_alu instid0(VALU_DEP_1) | instskip(SKIP_2) | instid1(VALU_DEP_1)
	v_add_co_ci_u32_e64 v13, s2, 0, v96, s2
	s_waitcnt vmcnt(1)
	v_add_f64 v[2:3], v[2:3], v[202:203]
	v_add_f64 v[2:3], v[2:3], v[206:207]
	s_delay_alu instid0(VALU_DEP_1) | instskip(NEXT) | instid1(VALU_DEP_1)
	v_add_f64 v[2:3], v[2:3], v[210:211]
	v_add_f64 v[2:3], v[2:3], v[214:215]
	s_waitcnt vmcnt(0)
	v_add_f64 v[0:1], v[0:1], v[200:201]
	s_delay_alu instid0(VALU_DEP_2) | instskip(NEXT) | instid1(VALU_DEP_2)
	v_add_f64 v[2:3], v[2:3], v[218:219]
	v_add_f64 v[0:1], v[0:1], v[204:205]
	s_delay_alu instid0(VALU_DEP_2) | instskip(NEXT) | instid1(VALU_DEP_2)
	v_add_f64 v[2:3], v[2:3], v[222:223]
	;; [unrolled: 3-line block ×5, first 2 shown]
	v_add_f64 v[0:1], v[0:1], v[220:221]
	s_delay_alu instid0(VALU_DEP_1) | instskip(NEXT) | instid1(VALU_DEP_1)
	v_add_f64 v[0:1], v[0:1], v[224:225]
	v_add_f64 v[0:1], v[0:1], v[228:229]
	s_delay_alu instid0(VALU_DEP_1)
	v_add_f64 v[0:1], v[0:1], v[234:235]
	ds_store_b128 v255, v[32:35] offset:23296
	ds_store_b128 v255, v[196:199] offset:26208
	;; [unrolled: 1-line block ×4, first 2 shown]
	ds_store_b128 v255, v[0:3]
	s_waitcnt lgkmcnt(0)
	s_waitcnt_vscnt null, 0x0
	s_barrier
	buffer_gl0_inv
	global_load_b128 v[0:3], v[4:5], off offset:3360
	scratch_store_b64 off, v[4:5], off offset:276 ; 8-byte Folded Spill
	ds_load_b128 v[4:7], v255
	ds_load_b128 v[8:11], v255 offset:2912
	global_load_b128 v[12:15], v[12:13], off offset:2352
	s_waitcnt vmcnt(1) lgkmcnt(1)
	v_mul_f64 v[16:17], v[6:7], v[2:3]
	v_mul_f64 v[18:19], v[4:5], v[2:3]
	s_delay_alu instid0(VALU_DEP_2) | instskip(NEXT) | instid1(VALU_DEP_2)
	v_fma_f64 v[2:3], v[4:5], v[0:1], -v[16:17]
	v_fma_f64 v[4:5], v[6:7], v[0:1], v[18:19]
	v_add_co_u32 v0, s2, 0xb000, v240
	s_delay_alu instid0(VALU_DEP_1) | instskip(SKIP_2) | instid1(VALU_DEP_1)
	v_add_co_ci_u32_e64 v1, s2, 0, v96, s2
	global_load_b128 v[16:19], v[0:1], off offset:2992
	v_add_co_u32 v0, s2, 0x7d20, v240
	v_add_co_ci_u32_e64 v1, s2, 0, v96, s2
	global_load_b128 v[20:23], v[0:1], off offset:2912
	ds_load_b128 v[24:27], v255 offset:16016
	ds_load_b128 v[28:31], v255 offset:11648
	s_waitcnt vmcnt(1) lgkmcnt(1)
	v_mul_f64 v[6:7], v[26:27], v[18:19]
	v_mul_f64 v[18:19], v[24:25], v[18:19]
	s_delay_alu instid0(VALU_DEP_2) | instskip(NEXT) | instid1(VALU_DEP_2)
	v_fma_f64 v[24:25], v[24:25], v[16:17], -v[6:7]
	v_fma_f64 v[26:27], v[26:27], v[16:17], v[18:19]
	s_waitcnt vmcnt(0)
	v_mul_f64 v[6:7], v[10:11], v[22:23]
	v_mul_f64 v[16:17], v[8:9], v[22:23]
	s_delay_alu instid0(VALU_DEP_2) | instskip(NEXT) | instid1(VALU_DEP_2)
	v_fma_f64 v[6:7], v[8:9], v[20:21], -v[6:7]
	v_fma_f64 v[8:9], v[10:11], v[20:21], v[16:17]
	v_add_co_u32 v10, s2, 0xc000, v240
	s_delay_alu instid0(VALU_DEP_1) | instskip(SKIP_1) | instid1(VALU_DEP_1)
	v_add_co_ci_u32_e64 v11, s2, 0, v96, s2
	v_add_co_u32 v44, s2, 0x9000, v240
	v_add_co_ci_u32_e64 v45, s2, 0, v96, s2
	s_clause 0x1
	global_load_b128 v[16:19], v[10:11], off offset:1808
	global_load_b128 v[20:23], v[44:45], off offset:992
	ds_load_b128 v[32:35], v255 offset:18928
	ds_load_b128 v[36:39], v255 offset:21840
	s_waitcnt vmcnt(1) lgkmcnt(1)
	v_mul_f64 v[10:11], v[34:35], v[18:19]
	v_mul_f64 v[18:19], v[32:33], v[18:19]
	s_delay_alu instid0(VALU_DEP_2) | instskip(NEXT) | instid1(VALU_DEP_2)
	v_fma_f64 v[32:33], v[32:33], v[16:17], -v[10:11]
	v_fma_f64 v[34:35], v[34:35], v[16:17], v[18:19]
	ds_load_b128 v[16:19], v255 offset:5824
	ds_load_b128 v[40:43], v255 offset:8736
	s_waitcnt vmcnt(0) lgkmcnt(1)
	v_mul_f64 v[10:11], v[18:19], v[22:23]
	v_mul_f64 v[22:23], v[16:17], v[22:23]
	s_delay_alu instid0(VALU_DEP_2) | instskip(SKIP_1) | instid1(VALU_DEP_1)
	v_fma_f64 v[16:17], v[16:17], v[20:21], -v[10:11]
	v_add_co_u32 v10, s2, 0xd000, v240
	v_add_co_ci_u32_e64 v11, s2, 0, v96, s2
	s_delay_alu instid0(VALU_DEP_4)
	v_fma_f64 v[18:19], v[18:19], v[20:21], v[22:23]
	s_clause 0x1
	global_load_b128 v[20:23], v[44:45], off offset:3904
	global_load_b128 v[44:47], v[10:11], off offset:624
	s_waitcnt vmcnt(0)
	v_mul_f64 v[48:49], v[38:39], v[46:47]
	v_mul_f64 v[46:47], v[36:37], v[46:47]
	s_delay_alu instid0(VALU_DEP_2) | instskip(NEXT) | instid1(VALU_DEP_2)
	v_fma_f64 v[36:37], v[36:37], v[44:45], -v[48:49]
	v_fma_f64 v[38:39], v[38:39], v[44:45], v[46:47]
	s_waitcnt lgkmcnt(0)
	v_mul_f64 v[44:45], v[42:43], v[22:23]
	v_mul_f64 v[22:23], v[40:41], v[22:23]
	s_delay_alu instid0(VALU_DEP_2) | instskip(SKIP_1) | instid1(VALU_DEP_1)
	v_fma_f64 v[40:41], v[40:41], v[20:21], -v[44:45]
	v_add_co_u32 v44, s2, 0xa000, v240
	v_add_co_ci_u32_e64 v45, s2, 0, v96, s2
	s_delay_alu instid0(VALU_DEP_4)
	v_fma_f64 v[42:43], v[42:43], v[20:21], v[22:23]
	s_clause 0x1
	global_load_b128 v[20:23], v[10:11], off offset:3536
	global_load_b128 v[44:47], v[44:45], off offset:2720
	ds_load_b128 v[48:51], v255 offset:24752
	ds_load_b128 v[52:55], v255 offset:27664
	s_waitcnt vmcnt(1) lgkmcnt(1)
	v_mul_f64 v[10:11], v[50:51], v[22:23]
	v_mul_f64 v[22:23], v[48:49], v[22:23]
	s_delay_alu instid0(VALU_DEP_2) | instskip(SKIP_2) | instid1(VALU_DEP_3)
	v_fma_f64 v[48:49], v[48:49], v[20:21], -v[10:11]
	s_waitcnt vmcnt(0)
	v_mul_f64 v[10:11], v[30:31], v[46:47]
	v_fma_f64 v[50:51], v[50:51], v[20:21], v[22:23]
	v_mul_f64 v[22:23], v[28:29], v[46:47]
	s_delay_alu instid0(VALU_DEP_3) | instskip(SKIP_3) | instid1(VALU_DEP_4)
	v_fma_f64 v[20:21], v[28:29], v[44:45], -v[10:11]
	s_waitcnt lgkmcnt(0)
	v_mul_f64 v[10:11], v[54:55], v[14:15]
	v_mul_f64 v[14:15], v[52:53], v[14:15]
	v_fma_f64 v[22:23], v[30:31], v[44:45], v[22:23]
	s_delay_alu instid0(VALU_DEP_3) | instskip(NEXT) | instid1(VALU_DEP_3)
	v_fma_f64 v[10:11], v[52:53], v[12:13], -v[10:11]
	v_fma_f64 v[12:13], v[54:55], v[12:13], v[14:15]
	ds_store_b128 v255, v[2:5]
	ds_store_b128 v255, v[6:9] offset:2912
	ds_store_b128 v255, v[32:35] offset:18928
	;; [unrolled: 1-line block ×9, first 2 shown]
	s_and_saveexec_b32 s3, vcc_lo
	s_cbranch_execz .LBB0_17
; %bb.16:
	v_add_co_u32 v2, s2, 0x3000, v0
	s_delay_alu instid0(VALU_DEP_1) | instskip(SKIP_1) | instid1(VALU_DEP_1)
	v_add_co_ci_u32_e64 v3, s2, 0, v1, s2
	v_add_co_u32 v4, s2, 0x7000, v0
	v_add_co_ci_u32_e64 v5, s2, 0, v1, s2
	s_clause 0x1
	global_load_b128 v[0:3], v[2:3], off offset:2272
	global_load_b128 v[4:7], v[4:5], off offset:1904
	ds_load_b128 v[8:11], v255 offset:14560
	ds_load_b128 v[12:15], v255 offset:30576
	s_waitcnt vmcnt(1) lgkmcnt(1)
	v_mul_f64 v[16:17], v[10:11], v[2:3]
	v_mul_f64 v[2:3], v[8:9], v[2:3]
	s_waitcnt vmcnt(0) lgkmcnt(0)
	v_mul_f64 v[18:19], v[14:15], v[6:7]
	v_mul_f64 v[20:21], v[12:13], v[6:7]
	s_delay_alu instid0(VALU_DEP_4) | instskip(NEXT) | instid1(VALU_DEP_4)
	v_fma_f64 v[6:7], v[8:9], v[0:1], -v[16:17]
	v_fma_f64 v[8:9], v[10:11], v[0:1], v[2:3]
	s_delay_alu instid0(VALU_DEP_4) | instskip(NEXT) | instid1(VALU_DEP_4)
	v_fma_f64 v[0:1], v[12:13], v[4:5], -v[18:19]
	v_fma_f64 v[2:3], v[14:15], v[4:5], v[20:21]
	ds_store_b128 v255, v[6:9] offset:14560
	ds_store_b128 v255, v[0:3] offset:30576
.LBB0_17:
	s_or_b32 exec_lo, exec_lo, s3
	s_waitcnt lgkmcnt(0)
	s_waitcnt_vscnt null, 0x0
	s_barrier
	buffer_gl0_inv
	ds_load_b128 v[196:199], v255
	ds_load_b128 v[204:207], v255 offset:2912
	ds_load_b128 v[212:215], v255 offset:18928
	;; [unrolled: 1-line block ×9, first 2 shown]
	scratch_load_b32 v0, off, off offset:260 ; 4-byte Folded Reload
	s_waitcnt vmcnt(0)
	v_add_nc_u32_e32 v2, 0x2d80, v0
	v_add_nc_u32_e32 v1, 0x4440, v0
	;; [unrolled: 1-line block ×3, first 2 shown]
	s_and_saveexec_b32 s2, vcc_lo
	s_cbranch_execz .LBB0_19
; %bb.18:
	ds_load_b128 v[188:191], v255 offset:14560
	ds_load_b128 v[184:187], v255 offset:30576
.LBB0_19:
	s_or_b32 exec_lo, exec_lo, s2
	s_waitcnt lgkmcnt(0)
	s_barrier
	buffer_gl0_inv
	scratch_load_b32 v3, off, off offset:236 ; 4-byte Folded Reload
	v_add_f64 v[220:221], v[196:197], -v[220:221]
	v_add_f64 v[222:223], v[198:199], -v[222:223]
	;; [unrolled: 1-line block ×12, first 2 shown]
	v_fma_f64 v[184:185], v[196:197], 2.0, -v[220:221]
	v_fma_f64 v[186:187], v[198:199], 2.0, -v[222:223]
	v_fma_f64 v[188:189], v[188:189], 2.0, -v[228:229]
	v_fma_f64 v[190:191], v[190:191], 2.0, -v[230:231]
	v_fma_f64 v[224:225], v[204:205], 2.0, -v[212:213]
	v_fma_f64 v[226:227], v[206:207], 2.0, -v[214:215]
	v_fma_f64 v[208:209], v[208:209], 2.0, -v[200:201]
	v_fma_f64 v[210:211], v[210:211], 2.0, -v[202:203]
	v_fma_f64 v[196:197], v[232:233], 2.0, -v[192:193]
	v_fma_f64 v[198:199], v[234:235], 2.0, -v[194:195]
	v_fma_f64 v[204:205], v[236:237], 2.0, -v[216:217]
	v_fma_f64 v[206:207], v[238:239], 2.0, -v[218:219]
	s_waitcnt vmcnt(0)
	ds_store_b128 v3, v[184:187]
	ds_store_b128 v3, v[220:223] offset:16
	scratch_load_b32 v3, off, off offset:244 ; 4-byte Folded Reload
	s_waitcnt vmcnt(0)
	ds_store_b128 v3, v[224:227]
	ds_store_b128 v3, v[212:215] offset:16
	ds_store_b128 v2, v[208:211]
	ds_store_b128 v2, v[200:203] offset:16
	;; [unrolled: 2-line block ×4, first 2 shown]
	s_and_saveexec_b32 s2, vcc_lo
	s_cbranch_execz .LBB0_21
; %bb.20:
	scratch_load_b32 v0, off, off offset:228 ; 4-byte Folded Reload
	s_waitcnt vmcnt(0)
	ds_store_b128 v0, v[188:191]
	ds_store_b128 v0, v[228:231] offset:16
.LBB0_21:
	s_or_b32 exec_lo, exec_lo, s2
	s_waitcnt lgkmcnt(0)
	s_barrier
	buffer_gl0_inv
	s_and_saveexec_b32 s2, s0
	s_cbranch_execz .LBB0_23
; %bb.22:
	ds_load_b128 v[184:187], v255
	ds_load_b128 v[220:223], v255 offset:2464
	ds_load_b128 v[224:227], v255 offset:4928
	;; [unrolled: 1-line block ×12, first 2 shown]
.LBB0_23:
	s_or_b32 exec_lo, exec_lo, s2
	scratch_load_b128 v[2:5], off, off offset:212 ; 16-byte Folded Reload
	s_mov_b32 s38, 0x4267c47c
	s_mov_b32 s39, 0xbfddbe06
	s_mov_b32 s16, 0xe00740e9
	s_mov_b32 s14, 0x42a4c3d2
	s_mov_b32 s17, 0x3fec55a7
	s_mov_b32 s15, 0xbfea55e2
	s_mov_b32 s2, 0x1ea71119
	s_mov_b32 s3, 0x3fe22d96
	s_mov_b32 s12, 0x66966769
	s_mov_b32 s13, 0xbfefc445
	s_mov_b32 s10, 0xebaa3ed8
	s_mov_b32 s11, 0x3fbedb7d
	s_mov_b32 s20, 0x2ef20147
	s_mov_b32 s21, 0xbfedeba7
	s_mov_b32 s18, 0xb2365da1
	s_mov_b32 s19, 0xbfd6b1d8
	s_mov_b32 s24, 0x24c2f84
	s_mov_b32 s25, 0xbfe5384d
	s_mov_b32 s22, 0xd0032e0c
	s_mov_b32 s23, 0xbfe7f3cc
	s_mov_b32 s28, 0x4bc48dbf
	s_mov_b32 s29, 0xbfcea1e5
	s_mov_b32 s26, 0x93053d00
	s_mov_b32 s27, 0xbfef11f4
	s_mov_b32 s37, 0x3fe5384d
	s_mov_b32 s36, s24
	s_mov_b32 s35, 0x3fefc445
	s_mov_b32 s34, s12
	s_mov_b32 s31, 0x3fddbe06
	s_mov_b32 s30, s38
	s_mov_b32 s40, s20
	s_mov_b32 s43, 0x3fcea1e5
	s_mov_b32 s42, s28
	s_mov_b32 s45, 0x3fea55e2
	s_mov_b32 s44, s14
	s_waitcnt vmcnt(0) lgkmcnt(11)
	v_mul_f64 v[0:1], v[4:5], v[220:221]
	s_delay_alu instid0(VALU_DEP_1) | instskip(SKIP_1) | instid1(VALU_DEP_1)
	v_fma_f64 v[42:43], v[2:3], v[222:223], -v[0:1]
	v_mul_f64 v[0:1], v[4:5], v[222:223]
	v_fma_f64 v[44:45], v[2:3], v[220:221], v[0:1]
	s_waitcnt lgkmcnt(0)
	v_mul_f64 v[0:1], v[138:139], v[180:181]
	scratch_load_b128 v[2:5], off, off offset:196 ; 16-byte Folded Reload
	v_fma_f64 v[6:7], v[136:137], v[182:183], -v[0:1]
	v_mul_f64 v[0:1], v[138:139], v[182:183]
	s_delay_alu instid0(VALU_DEP_2) | instskip(NEXT) | instid1(VALU_DEP_2)
	v_add_f64 v[54:55], v[42:43], -v[6:7]
	v_fma_f64 v[8:9], v[136:137], v[180:181], v[0:1]
	v_mul_f64 v[0:1], v[102:103], v[224:225]
	v_add_f64 v[58:59], v[42:43], v[6:7]
	s_delay_alu instid0(VALU_DEP_4) | instskip(NEXT) | instid1(VALU_DEP_4)
	v_mul_f64 v[241:242], v[54:55], s[38:39]
	v_add_f64 v[253:254], v[44:45], v[8:9]
	s_delay_alu instid0(VALU_DEP_4)
	v_fma_f64 v[14:15], v[100:101], v[226:227], -v[0:1]
	v_mul_f64 v[0:1], v[102:103], v[226:227]
	v_mul_f64 v[50:51], v[54:55], s[12:13]
	v_mul_f64 v[52:53], v[58:59], s[10:11]
	v_mul_f64 v[182:183], v[58:59], s[18:19]
	v_mul_f64 v[245:246], v[54:55], s[24:25]
	v_mul_f64 v[98:99], v[54:55], s[28:29]
	v_mul_f64 v[96:97], v[58:59], s[26:27]
	v_fma_f64 v[16:17], v[100:101], v[224:225], v[0:1]
	v_mul_f64 v[0:1], v[106:107], v[228:229]
	s_delay_alu instid0(VALU_DEP_1) | instskip(SKIP_1) | instid1(VALU_DEP_2)
	v_fma_f64 v[10:11], v[104:105], v[230:231], -v[0:1]
	v_mul_f64 v[0:1], v[106:107], v[230:231]
	v_add_f64 v[56:57], v[14:15], -v[10:11]
	s_delay_alu instid0(VALU_DEP_2) | instskip(SKIP_1) | instid1(VALU_DEP_3)
	v_fma_f64 v[12:13], v[104:105], v[228:229], v[0:1]
	v_mul_f64 v[0:1], v[82:83], v[212:213]
	v_mul_f64 v[220:221], v[56:57], s[36:37]
	;; [unrolled: 1-line block ×3, first 2 shown]
	s_delay_alu instid0(VALU_DEP_3) | instskip(SKIP_1) | instid1(VALU_DEP_1)
	v_fma_f64 v[18:19], v[80:81], v[214:215], -v[0:1]
	v_mul_f64 v[0:1], v[82:83], v[214:215]
	v_fma_f64 v[24:25], v[80:81], v[212:213], v[0:1]
	v_mul_f64 v[0:1], v[90:91], v[188:189]
	v_add_f64 v[212:213], v[16:17], -v[12:13]
	s_delay_alu instid0(VALU_DEP_2) | instskip(SKIP_1) | instid1(VALU_DEP_1)
	v_fma_f64 v[20:21], v[88:89], v[190:191], -v[0:1]
	v_mul_f64 v[0:1], v[90:91], v[190:191]
	v_fma_f64 v[22:23], v[88:89], v[188:189], v[0:1]
	s_waitcnt vmcnt(0)
	v_mul_f64 v[0:1], v[4:5], v[208:209]
	v_mul_f64 v[188:189], v[56:57], s[30:31]
	s_delay_alu instid0(VALU_DEP_3) | instskip(NEXT) | instid1(VALU_DEP_3)
	v_add_f64 v[224:225], v[24:25], -v[22:23]
	v_fma_f64 v[26:27], v[2:3], v[210:211], -v[0:1]
	v_mul_f64 v[0:1], v[4:5], v[210:211]
	v_mul_f64 v[4:5], v[86:87], v[192:193]
	s_delay_alu instid0(VALU_DEP_2) | instskip(SKIP_3) | instid1(VALU_DEP_3)
	v_fma_f64 v[32:33], v[2:3], v[208:209], v[0:1]
	v_mul_f64 v[0:1], v[94:95], v[216:217]
	v_mul_f64 v[2:3], v[62:63], v[206:207]
	v_add_f64 v[208:209], v[24:25], v[22:23]
	v_fma_f64 v[28:29], v[92:93], v[218:219], -v[0:1]
	v_mul_f64 v[0:1], v[94:95], v[218:219]
	s_delay_alu instid0(VALU_DEP_4)
	v_fma_f64 v[38:39], v[60:61], v[204:205], v[2:3]
	v_mul_f64 v[2:3], v[74:75], v[198:199]
	v_mul_f64 v[94:95], v[58:59], s[22:23]
	v_add_f64 v[90:91], v[26:27], -v[28:29]
	v_fma_f64 v[30:31], v[92:93], v[216:217], v[0:1]
	v_mul_f64 v[0:1], v[78:79], v[200:201]
	v_fma_f64 v[46:47], v[72:73], v[196:197], v[2:3]
	v_mul_f64 v[2:3], v[56:57], s[14:15]
	v_mul_f64 v[218:219], v[90:91], s[42:43]
	v_add_f64 v[216:217], v[32:33], v[30:31]
	v_fma_f64 v[34:35], v[76:77], v[202:203], -v[0:1]
	v_mul_f64 v[0:1], v[78:79], v[202:203]
	s_clause 0x2
	scratch_store_b64 off, v[2:3], off offset:516
	scratch_store_b64 off, v[6:7], off offset:196
	;; [unrolled: 1-line block ×3, first 2 shown]
	v_add_f64 v[6:7], v[44:45], -v[8:9]
	s_clause 0x5
	scratch_store_b64 off, v[8:9], off offset:212
	scratch_store_b64 off, v[44:45], off offset:492
	;; [unrolled: 1-line block ×6, first 2 shown]
	v_add_f64 v[78:79], v[18:19], v[20:21]
	v_add_f64 v[234:235], v[32:33], -v[30:31]
	v_mul_f64 v[236:237], v[90:91], s[44:45]
	v_fma_f64 v[40:41], v[76:77], v[200:201], v[0:1]
	v_mul_f64 v[0:1], v[62:63], v[204:205]
	v_add_f64 v[204:205], v[16:17], v[12:13]
	v_add_f64 v[76:77], v[18:19], -v[20:21]
	v_add_f64 v[200:201], v[26:27], v[28:29]
	v_mul_f64 v[62:63], v[54:55], s[20:21]
	v_mul_f64 v[138:139], v[78:79], s[16:17]
	;; [unrolled: 1-line block ×3, first 2 shown]
	v_add_f64 v[228:229], v[40:41], v[38:39]
	v_fma_f64 v[36:37], v[60:61], v[206:207], -v[0:1]
	v_mul_f64 v[0:1], v[74:75], v[196:197]
	v_fma_f64 v[2:3], v[204:205], s[2:3], -v[2:3]
	v_add_f64 v[60:61], v[14:15], v[10:11]
	v_add_f64 v[247:248], v[40:41], -v[38:39]
	v_mul_f64 v[136:137], v[76:77], s[30:31]
	v_mul_f64 v[206:207], v[90:91], s[12:13]
	;; [unrolled: 1-line block ×6, first 2 shown]
	v_add_f64 v[232:233], v[34:35], -v[36:37]
	v_fma_f64 v[48:49], v[72:73], v[198:199], -v[0:1]
	v_mul_f64 v[0:1], v[86:87], v[194:195]
	v_fma_f64 v[194:195], v[84:85], v[194:195], -v[4:5]
	v_mul_f64 v[4:5], v[58:59], s[16:17]
	v_mul_f64 v[8:9], v[60:61], s[2:3]
	v_add_f64 v[222:223], v[34:35], v[36:37]
	v_mul_f64 v[100:101], v[60:61], s[22:23]
	v_mul_f64 v[226:227], v[60:61], s[10:11]
	;; [unrolled: 1-line block ×5, first 2 shown]
	v_fma_f64 v[192:193], v[84:85], v[192:193], v[0:1]
	v_fma_f64 v[0:1], v[253:254], s[16:17], -v[241:242]
	v_add_f64 v[196:197], v[48:49], -v[194:195]
	scratch_store_b64 off, v[8:9], off offset:532 ; 8-byte Folded Spill
	v_fma_f64 v[8:9], v[212:213], s[14:15], v[8:9]
	v_add_f64 v[198:199], v[48:49], v[194:195]
	v_mul_f64 v[162:163], v[222:223], s[26:27]
	v_add_f64 v[238:239], v[46:47], v[192:193]
	v_add_f64 v[0:1], v[184:185], v[0:1]
	v_add_f64 v[251:252], v[46:47], -v[192:193]
	v_mul_f64 v[160:161], v[196:197], s[44:45]
	v_mul_f64 v[243:244], v[198:199], s[16:17]
	;; [unrolled: 1-line block ×4, first 2 shown]
	v_add_f64 v[0:1], v[2:3], v[0:1]
	v_fma_f64 v[2:3], v[6:7], s[38:39], v[4:5]
	s_delay_alu instid0(VALU_DEP_1) | instskip(NEXT) | instid1(VALU_DEP_1)
	v_add_f64 v[2:3], v[186:187], v[2:3]
	v_add_f64 v[2:3], v[8:9], v[2:3]
	v_mul_f64 v[8:9], v[76:77], s[12:13]
	scratch_store_b64 off, v[8:9], off offset:524 ; 8-byte Folded Spill
	v_fma_f64 v[8:9], v[208:209], s[10:11], -v[8:9]
	s_clause 0x3
	scratch_store_b64 off, v[18:19], off offset:284
	scratch_store_b64 off, v[20:21], off offset:292
	;; [unrolled: 1-line block ×4, first 2 shown]
	v_mul_f64 v[20:21], v[200:201], s[22:23]
	v_mul_f64 v[24:25], v[222:223], s[10:11]
	v_add_f64 v[0:1], v[8:9], v[0:1]
	v_mul_f64 v[8:9], v[78:79], s[10:11]
	scratch_store_b64 off, v[8:9], off offset:548 ; 8-byte Folded Spill
	v_fma_f64 v[8:9], v[224:225], s[12:13], v[8:9]
	s_delay_alu instid0(VALU_DEP_1)
	v_add_f64 v[2:3], v[8:9], v[2:3]
	v_mul_f64 v[8:9], v[90:91], s[20:21]
	scratch_store_b64 off, v[8:9], off offset:540 ; 8-byte Folded Spill
	v_fma_f64 v[8:9], v[216:217], s[18:19], -v[8:9]
	s_clause 0x3
	scratch_store_b64 off, v[26:27], off offset:420
	scratch_store_b64 off, v[28:29], off offset:428
	;; [unrolled: 1-line block ×4, first 2 shown]
	v_add_f64 v[0:1], v[8:9], v[0:1]
	v_mul_f64 v[8:9], v[200:201], s[18:19]
	scratch_store_b64 off, v[8:9], off offset:564 ; 8-byte Folded Spill
	v_fma_f64 v[8:9], v[234:235], s[20:21], v[8:9]
	s_delay_alu instid0(VALU_DEP_1)
	v_add_f64 v[2:3], v[8:9], v[2:3]
	v_mul_f64 v[8:9], v[232:233], s[24:25]
	scratch_store_b64 off, v[8:9], off offset:556 ; 8-byte Folded Spill
	v_fma_f64 v[8:9], v[228:229], s[22:23], -v[8:9]
	s_clause 0x5
	scratch_store_b64 off, v[34:35], off offset:452
	scratch_store_b64 off, v[36:37], off offset:460
	;; [unrolled: 1-line block ×6, first 2 shown]
	v_mul_f64 v[46:47], v[54:55], s[14:15]
	v_mul_f64 v[48:49], v[58:59], s[2:3]
	v_fma_f64 v[54:55], v[253:254], s[26:27], -v[98:99]
	v_fma_f64 v[58:59], v[212:213], s[30:31], v[190:191]
	v_add_f64 v[0:1], v[8:9], v[0:1]
	v_mul_f64 v[8:9], v[222:223], s[22:23]
	s_delay_alu instid0(VALU_DEP_4) | instskip(SKIP_2) | instid1(VALU_DEP_1)
	v_add_f64 v[54:55], v[184:185], v[54:55]
	scratch_store_b64 off, v[8:9], off offset:580 ; 8-byte Folded Spill
	v_fma_f64 v[8:9], v[247:248], s[24:25], v[8:9]
	v_add_f64 v[2:3], v[8:9], v[2:3]
	v_mul_f64 v[8:9], v[196:197], s[28:29]
	scratch_store_b64 off, v[8:9], off offset:572 ; 8-byte Folded Spill
	v_fma_f64 v[8:9], v[238:239], s[26:27], -v[8:9]
	s_delay_alu instid0(VALU_DEP_1)
	v_add_f64 v[64:65], v[8:9], v[0:1]
	v_mul_f64 v[0:1], v[198:199], s[26:27]
	scratch_store_b64 off, v[0:1], off offset:588 ; 8-byte Folded Spill
	v_fma_f64 v[0:1], v[251:252], s[28:29], v[0:1]
	s_waitcnt_vscnt null, 0x0
	s_barrier
	buffer_gl0_inv
	v_add_f64 v[66:67], v[0:1], v[2:3]
	v_fma_f64 v[0:1], v[253:254], s[2:3], -v[46:47]
	s_delay_alu instid0(VALU_DEP_1) | instskip(SKIP_1) | instid1(VALU_DEP_1)
	v_add_f64 v[2:3], v[184:185], v[0:1]
	v_mul_f64 v[0:1], v[56:57], s[20:21]
	v_fma_f64 v[8:9], v[204:205], s[18:19], -v[0:1]
	s_delay_alu instid0(VALU_DEP_1) | instskip(SKIP_2) | instid1(VALU_DEP_2)
	v_add_f64 v[10:11], v[8:9], v[2:3]
	v_fma_f64 v[2:3], v[6:7], s[14:15], v[48:49]
	v_mul_f64 v[8:9], v[60:61], s[18:19]
	v_add_f64 v[2:3], v[186:187], v[2:3]
	s_delay_alu instid0(VALU_DEP_2) | instskip(NEXT) | instid1(VALU_DEP_1)
	v_fma_f64 v[12:13], v[212:213], s[20:21], v[8:9]
	v_add_f64 v[14:15], v[12:13], v[2:3]
	v_mul_f64 v[2:3], v[76:77], s[28:29]
	s_delay_alu instid0(VALU_DEP_1) | instskip(NEXT) | instid1(VALU_DEP_1)
	v_fma_f64 v[12:13], v[208:209], s[26:27], -v[2:3]
	v_add_f64 v[16:17], v[12:13], v[10:11]
	v_mul_f64 v[12:13], v[78:79], s[26:27]
	s_delay_alu instid0(VALU_DEP_1) | instskip(NEXT) | instid1(VALU_DEP_1)
	v_fma_f64 v[10:11], v[224:225], s[28:29], v[12:13]
	v_add_f64 v[14:15], v[10:11], v[14:15]
	v_mul_f64 v[10:11], v[90:91], s[36:37]
	s_delay_alu instid0(VALU_DEP_1) | instskip(NEXT) | instid1(VALU_DEP_1)
	v_fma_f64 v[18:19], v[216:217], s[22:23], -v[10:11]
	v_add_f64 v[18:19], v[18:19], v[16:17]
	v_fma_f64 v[16:17], v[234:235], s[36:37], v[20:21]
	s_delay_alu instid0(VALU_DEP_1) | instskip(SKIP_1) | instid1(VALU_DEP_1)
	v_add_f64 v[14:15], v[16:17], v[14:15]
	v_mul_f64 v[16:17], v[232:233], s[34:35]
	v_fma_f64 v[22:23], v[228:229], s[10:11], -v[16:17]
	s_delay_alu instid0(VALU_DEP_1) | instskip(SKIP_1) | instid1(VALU_DEP_1)
	v_add_f64 v[22:23], v[22:23], v[18:19]
	v_fma_f64 v[18:19], v[247:248], s[34:35], v[24:25]
	v_add_f64 v[14:15], v[18:19], v[14:15]
	v_mul_f64 v[18:19], v[196:197], s[30:31]
	s_delay_alu instid0(VALU_DEP_1) | instskip(NEXT) | instid1(VALU_DEP_1)
	v_fma_f64 v[26:27], v[238:239], s[16:17], -v[18:19]
	v_add_f64 v[68:69], v[26:27], v[22:23]
	v_fma_f64 v[22:23], v[251:252], s[30:31], v[243:244]
	s_delay_alu instid0(VALU_DEP_1) | instskip(SKIP_1) | instid1(VALU_DEP_1)
	v_add_f64 v[70:71], v[22:23], v[14:15]
	v_fma_f64 v[14:15], v[253:254], s[10:11], -v[50:51]
	v_add_f64 v[22:23], v[184:185], v[14:15]
	v_mul_f64 v[14:15], v[56:57], s[28:29]
	v_fma_f64 v[56:57], v[204:205], s[16:17], -v[188:189]
	s_delay_alu instid0(VALU_DEP_2) | instskip(NEXT) | instid1(VALU_DEP_2)
	v_fma_f64 v[26:27], v[204:205], s[26:27], -v[14:15]
	v_add_f64 v[54:55], v[56:57], v[54:55]
	v_fma_f64 v[56:57], v[6:7], s[28:29], v[96:97]
	s_delay_alu instid0(VALU_DEP_3) | instskip(SKIP_2) | instid1(VALU_DEP_4)
	v_add_f64 v[28:29], v[26:27], v[22:23]
	v_fma_f64 v[22:23], v[6:7], s[12:13], v[52:53]
	v_mul_f64 v[26:27], v[60:61], s[26:27]
	v_add_f64 v[56:57], v[186:187], v[56:57]
	s_delay_alu instid0(VALU_DEP_3) | instskip(NEXT) | instid1(VALU_DEP_3)
	v_add_f64 v[22:23], v[186:187], v[22:23]
	v_fma_f64 v[30:31], v[212:213], s[28:29], v[26:27]
	s_delay_alu instid0(VALU_DEP_3) | instskip(SKIP_1) | instid1(VALU_DEP_3)
	v_add_f64 v[56:57], v[58:59], v[56:57]
	v_fma_f64 v[58:59], v[208:209], s[22:23], -v[249:250]
	v_add_f64 v[30:31], v[30:31], v[22:23]
	v_mul_f64 v[22:23], v[76:77], s[40:41]
	s_delay_alu instid0(VALU_DEP_3) | instskip(NEXT) | instid1(VALU_DEP_2)
	v_add_f64 v[54:55], v[58:59], v[54:55]
	v_fma_f64 v[32:33], v[208:209], s[18:19], -v[22:23]
	s_delay_alu instid0(VALU_DEP_1) | instskip(SKIP_1) | instid1(VALU_DEP_1)
	v_add_f64 v[34:35], v[32:33], v[28:29]
	v_mul_f64 v[32:33], v[78:79], s[18:19]
	v_fma_f64 v[28:29], v[224:225], s[40:41], v[32:33]
	s_delay_alu instid0(VALU_DEP_1) | instskip(SKIP_2) | instid1(VALU_DEP_2)
	v_add_f64 v[30:31], v[28:29], v[30:31]
	v_mul_f64 v[28:29], v[90:91], s[30:31]
	v_mul_f64 v[90:91], v[200:201], s[2:3]
	v_fma_f64 v[36:37], v[216:217], s[16:17], -v[28:29]
	s_delay_alu instid0(VALU_DEP_1) | instskip(SKIP_1) | instid1(VALU_DEP_1)
	v_add_f64 v[36:37], v[36:37], v[34:35]
	v_mul_f64 v[34:35], v[200:201], s[16:17]
	v_fma_f64 v[38:39], v[234:235], s[30:31], v[34:35]
	s_delay_alu instid0(VALU_DEP_1) | instskip(SKIP_1) | instid1(VALU_DEP_1)
	v_add_f64 v[40:41], v[38:39], v[30:31]
	v_mul_f64 v[30:31], v[232:233], s[14:15]
	v_fma_f64 v[38:39], v[228:229], s[2:3], -v[30:31]
	s_delay_alu instid0(VALU_DEP_1) | instskip(SKIP_1) | instid1(VALU_DEP_1)
	v_add_f64 v[42:43], v[38:39], v[36:37]
	v_mul_f64 v[38:39], v[222:223], s[2:3]
	v_fma_f64 v[36:37], v[247:248], s[14:15], v[38:39]
	s_delay_alu instid0(VALU_DEP_1) | instskip(SKIP_1) | instid1(VALU_DEP_1)
	v_add_f64 v[40:41], v[36:37], v[40:41]
	v_mul_f64 v[36:37], v[196:197], s[24:25]
	v_fma_f64 v[44:45], v[238:239], s[22:23], -v[36:37]
	s_delay_alu instid0(VALU_DEP_1) | instskip(SKIP_2) | instid1(VALU_DEP_2)
	v_add_f64 v[72:73], v[44:45], v[42:43]
	v_fma_f64 v[42:43], v[251:252], s[24:25], v[202:203]
	v_fma_f64 v[44:45], v[212:213], s[36:37], v[100:101]
	v_add_f64 v[74:75], v[42:43], v[40:41]
	v_fma_f64 v[40:41], v[253:254], s[18:19], -v[62:63]
	v_fma_f64 v[42:43], v[204:205], s[22:23], -v[220:221]
	s_delay_alu instid0(VALU_DEP_2) | instskip(NEXT) | instid1(VALU_DEP_1)
	v_add_f64 v[40:41], v[184:185], v[40:41]
	v_add_f64 v[40:41], v[42:43], v[40:41]
	v_fma_f64 v[42:43], v[6:7], s[20:21], v[182:183]
	s_delay_alu instid0(VALU_DEP_1) | instskip(NEXT) | instid1(VALU_DEP_1)
	v_add_f64 v[42:43], v[186:187], v[42:43]
	v_add_f64 v[42:43], v[44:45], v[42:43]
	v_fma_f64 v[44:45], v[208:209], s[16:17], -v[136:137]
	s_delay_alu instid0(VALU_DEP_1) | instskip(SKIP_1) | instid1(VALU_DEP_1)
	v_add_f64 v[40:41], v[44:45], v[40:41]
	v_fma_f64 v[44:45], v[224:225], s[30:31], v[138:139]
	v_add_f64 v[42:43], v[44:45], v[42:43]
	v_fma_f64 v[44:45], v[216:217], s[10:11], -v[206:207]
	s_delay_alu instid0(VALU_DEP_1) | instskip(SKIP_1) | instid1(VALU_DEP_1)
	v_add_f64 v[40:41], v[44:45], v[40:41]
	v_fma_f64 v[44:45], v[234:235], s[12:13], v[210:211]
	;; [unrolled: 5-line block ×3, first 2 shown]
	v_add_f64 v[42:43], v[44:45], v[42:43]
	v_fma_f64 v[44:45], v[238:239], s[2:3], -v[160:161]
	s_delay_alu instid0(VALU_DEP_1) | instskip(SKIP_2) | instid1(VALU_DEP_2)
	v_add_f64 v[80:81], v[44:45], v[40:41]
	v_fma_f64 v[40:41], v[251:252], s[44:45], v[214:215]
	v_fma_f64 v[44:45], v[212:213], s[34:35], v[226:227]
	v_add_f64 v[82:83], v[40:41], v[42:43]
	v_fma_f64 v[40:41], v[253:254], s[22:23], -v[245:246]
	v_fma_f64 v[42:43], v[204:205], s[10:11], -v[180:181]
	s_delay_alu instid0(VALU_DEP_2) | instskip(NEXT) | instid1(VALU_DEP_1)
	v_add_f64 v[40:41], v[184:185], v[40:41]
	v_add_f64 v[40:41], v[42:43], v[40:41]
	v_fma_f64 v[42:43], v[6:7], s[24:25], v[94:95]
	s_delay_alu instid0(VALU_DEP_1) | instskip(NEXT) | instid1(VALU_DEP_1)
	v_add_f64 v[42:43], v[186:187], v[42:43]
	v_add_f64 v[42:43], v[44:45], v[42:43]
	v_fma_f64 v[44:45], v[208:209], s[2:3], -v[104:105]
	s_delay_alu instid0(VALU_DEP_1) | instskip(SKIP_1) | instid1(VALU_DEP_1)
	v_add_f64 v[40:41], v[44:45], v[40:41]
	v_fma_f64 v[44:45], v[224:225], s[14:15], v[230:231]
	v_add_f64 v[42:43], v[44:45], v[42:43]
	v_fma_f64 v[44:45], v[216:217], s[26:27], -v[218:219]
	s_delay_alu instid0(VALU_DEP_1) | instskip(SKIP_1) | instid1(VALU_DEP_1)
	v_add_f64 v[40:41], v[44:45], v[40:41]
	v_fma_f64 v[44:45], v[234:235], s[42:43], v[88:89]
	v_add_f64 v[44:45], v[44:45], v[42:43]
	v_fma_f64 v[42:43], v[228:229], s[16:17], -v[106:107]
	s_delay_alu instid0(VALU_DEP_1) | instskip(SKIP_1) | instid1(VALU_DEP_1)
	v_add_f64 v[84:85], v[42:43], v[40:41]
	v_mul_f64 v[42:43], v[222:223], s[16:17]
	v_fma_f64 v[40:41], v[247:248], s[30:31], v[42:43]
	s_delay_alu instid0(VALU_DEP_1) | instskip(SKIP_1) | instid1(VALU_DEP_1)
	v_add_f64 v[86:87], v[40:41], v[44:45]
	v_mul_f64 v[40:41], v[196:197], s[20:21]
	v_fma_f64 v[44:45], v[238:239], s[18:19], -v[40:41]
	s_delay_alu instid0(VALU_DEP_1) | instskip(SKIP_1) | instid1(VALU_DEP_1)
	v_add_f64 v[84:85], v[44:45], v[84:85]
	v_mul_f64 v[44:45], v[198:199], s[18:19]
	v_fma_f64 v[92:93], v[251:252], s[20:21], v[44:45]
	s_delay_alu instid0(VALU_DEP_1) | instskip(SKIP_1) | instid1(VALU_DEP_1)
	v_add_f64 v[86:87], v[92:93], v[86:87]
	v_mul_f64 v[92:93], v[78:79], s[22:23]
	v_fma_f64 v[58:59], v[224:225], s[24:25], v[92:93]
	s_delay_alu instid0(VALU_DEP_1) | instskip(SKIP_1) | instid1(VALU_DEP_1)
	v_add_f64 v[56:57], v[58:59], v[56:57]
	v_fma_f64 v[58:59], v[216:217], s[2:3], -v[236:237]
	v_add_f64 v[54:55], v[58:59], v[54:55]
	v_fma_f64 v[58:59], v[234:235], s[44:45], v[90:91]
	s_delay_alu instid0(VALU_DEP_1) | instskip(SKIP_1) | instid1(VALU_DEP_1)
	v_add_f64 v[56:57], v[58:59], v[56:57]
	v_mul_f64 v[58:59], v[232:233], s[20:21]
	v_fma_f64 v[60:61], v[228:229], s[18:19], -v[58:59]
	s_delay_alu instid0(VALU_DEP_1) | instskip(SKIP_1) | instid1(VALU_DEP_1)
	v_add_f64 v[76:77], v[60:61], v[54:55]
	v_mul_f64 v[60:61], v[222:223], s[18:19]
	v_fma_f64 v[54:55], v[247:248], s[20:21], v[60:61]
	s_delay_alu instid0(VALU_DEP_1) | instskip(SKIP_2) | instid1(VALU_DEP_2)
	v_add_f64 v[78:79], v[54:55], v[56:57]
	v_mul_f64 v[54:55], v[196:197], s[34:35]
	v_mul_f64 v[56:57], v[198:199], s[10:11]
	v_fma_f64 v[196:197], v[238:239], s[10:11], -v[54:55]
	s_delay_alu instid0(VALU_DEP_1) | instskip(NEXT) | instid1(VALU_DEP_3)
	v_add_f64 v[76:77], v[196:197], v[76:77]
	v_fma_f64 v[196:197], v[251:252], s[34:35], v[56:57]
	s_delay_alu instid0(VALU_DEP_1)
	v_add_f64 v[78:79], v[196:197], v[78:79]
	s_and_saveexec_b32 s33, s0
	s_cbranch_execz .LBB0_25
; %bb.24:
	v_mul_f64 v[196:197], v[6:7], s[28:29]
	s_clause 0x1
	scratch_load_b64 v[198:199], off, off offset:484
	scratch_load_b64 v[200:201], off, off offset:492
	v_mul_f64 v[222:223], v[247:248], s[20:21]
	v_add_f64 v[96:97], v[96:97], -v[196:197]
	v_mul_f64 v[196:197], v[253:254], s[26:27]
	s_delay_alu instid0(VALU_DEP_3) | instskip(NEXT) | instid1(VALU_DEP_3)
	v_add_f64 v[60:61], v[60:61], -v[222:223]
	v_add_f64 v[96:97], v[186:187], v[96:97]
	s_delay_alu instid0(VALU_DEP_3) | instskip(SKIP_1) | instid1(VALU_DEP_2)
	v_add_f64 v[98:99], v[196:197], v[98:99]
	v_mul_f64 v[196:197], v[6:7], s[24:25]
	v_add_f64 v[98:99], v[184:185], v[98:99]
	s_delay_alu instid0(VALU_DEP_2) | instskip(SKIP_1) | instid1(VALU_DEP_2)
	v_add_f64 v[94:95], v[94:95], -v[196:197]
	v_mul_f64 v[196:197], v[6:7], s[20:21]
	v_add_f64 v[94:95], v[186:187], v[94:95]
	s_delay_alu instid0(VALU_DEP_2) | instskip(SKIP_1) | instid1(VALU_DEP_2)
	v_add_f64 v[182:183], v[182:183], -v[196:197]
	v_mul_f64 v[196:197], v[253:254], s[18:19]
	v_add_f64 v[182:183], v[186:187], v[182:183]
	s_delay_alu instid0(VALU_DEP_2) | instskip(SKIP_1) | instid1(VALU_DEP_2)
	v_add_f64 v[62:63], v[196:197], v[62:63]
	v_mul_f64 v[196:197], v[6:7], s[12:13]
	v_add_f64 v[62:63], v[184:185], v[62:63]
	s_delay_alu instid0(VALU_DEP_2) | instskip(SKIP_1) | instid1(VALU_DEP_2)
	v_add_f64 v[52:53], v[52:53], -v[196:197]
	v_mul_f64 v[196:197], v[253:254], s[10:11]
	v_add_f64 v[52:53], v[186:187], v[52:53]
	s_delay_alu instid0(VALU_DEP_2) | instskip(SKIP_2) | instid1(VALU_DEP_3)
	v_add_f64 v[50:51], v[196:197], v[50:51]
	v_mul_f64 v[196:197], v[6:7], s[14:15]
	v_mul_f64 v[6:7], v[6:7], s[38:39]
	v_add_f64 v[50:51], v[184:185], v[50:51]
	s_delay_alu instid0(VALU_DEP_3) | instskip(SKIP_1) | instid1(VALU_DEP_4)
	v_add_f64 v[48:49], v[48:49], -v[196:197]
	v_mul_f64 v[196:197], v[253:254], s[2:3]
	v_add_f64 v[4:5], v[4:5], -v[6:7]
	v_mul_f64 v[6:7], v[253:254], s[16:17]
	s_waitcnt vmcnt(1)
	v_add_f64 v[198:199], v[186:187], v[198:199]
	s_waitcnt vmcnt(0)
	v_add_f64 v[200:201], v[184:185], v[200:201]
	v_add_f64 v[48:49], v[186:187], v[48:49]
	;; [unrolled: 1-line block ×3, first 2 shown]
	v_mul_f64 v[196:197], v[253:254], s[22:23]
	v_add_f64 v[6:7], v[6:7], v[241:242]
	v_add_f64 v[186:187], v[186:187], v[4:5]
	v_mul_f64 v[4:5], v[212:213], s[30:31]
	v_add_f64 v[46:47], v[184:185], v[46:47]
	v_add_f64 v[196:197], v[196:197], v[245:246]
	s_delay_alu instid0(VALU_DEP_3) | instskip(SKIP_1) | instid1(VALU_DEP_3)
	v_add_f64 v[4:5], v[190:191], -v[4:5]
	v_mul_f64 v[190:191], v[234:235], s[44:45]
	v_add_f64 v[196:197], v[184:185], v[196:197]
	v_add_f64 v[184:185], v[184:185], v[6:7]
	v_mul_f64 v[6:7], v[204:205], s[16:17]
	v_add_f64 v[4:5], v[4:5], v[96:97]
	v_add_f64 v[90:91], v[90:91], -v[190:191]
	v_mul_f64 v[190:191], v[216:217], s[2:3]
	v_mul_f64 v[96:97], v[228:229], s[18:19]
	v_add_f64 v[6:7], v[6:7], v[188:189]
	v_mul_f64 v[188:189], v[224:225], s[24:25]
	s_delay_alu instid0(VALU_DEP_4) | instskip(NEXT) | instid1(VALU_DEP_4)
	v_add_f64 v[190:191], v[190:191], v[236:237]
	v_add_f64 v[58:59], v[96:97], v[58:59]
	s_delay_alu instid0(VALU_DEP_4) | instskip(NEXT) | instid1(VALU_DEP_4)
	v_add_f64 v[6:7], v[6:7], v[98:99]
	v_add_f64 v[92:93], v[92:93], -v[188:189]
	v_mul_f64 v[188:189], v[208:209], s[22:23]
	s_delay_alu instid0(VALU_DEP_2) | instskip(NEXT) | instid1(VALU_DEP_2)
	v_add_f64 v[4:5], v[92:93], v[4:5]
	v_add_f64 v[188:189], v[188:189], v[249:250]
	v_mul_f64 v[92:93], v[251:252], s[34:35]
	s_delay_alu instid0(VALU_DEP_3) | instskip(NEXT) | instid1(VALU_DEP_3)
	v_add_f64 v[4:5], v[90:91], v[4:5]
	v_add_f64 v[6:7], v[188:189], v[6:7]
	v_mul_f64 v[90:91], v[238:239], s[10:11]
	s_delay_alu instid0(VALU_DEP_4) | instskip(NEXT) | instid1(VALU_DEP_4)
	v_add_f64 v[56:57], v[56:57], -v[92:93]
	v_add_f64 v[4:5], v[60:61], v[4:5]
	s_delay_alu instid0(VALU_DEP_4) | instskip(NEXT) | instid1(VALU_DEP_4)
	v_add_f64 v[6:7], v[190:191], v[6:7]
	v_add_f64 v[54:55], v[90:91], v[54:55]
	s_delay_alu instid0(VALU_DEP_2) | instskip(NEXT) | instid1(VALU_DEP_4)
	v_add_f64 v[58:59], v[58:59], v[6:7]
	v_add_f64 v[6:7], v[56:57], v[4:5]
	scratch_load_b64 v[56:57], off, off offset:556 ; 8-byte Folded Reload
	v_add_f64 v[4:5], v[54:55], v[58:59]
	v_mul_f64 v[54:55], v[212:213], s[20:21]
	s_delay_alu instid0(VALU_DEP_1) | instskip(SKIP_1) | instid1(VALU_DEP_2)
	v_add_f64 v[8:9], v[8:9], -v[54:55]
	v_mul_f64 v[54:55], v[204:205], s[18:19]
	v_add_f64 v[8:9], v[8:9], v[48:49]
	s_delay_alu instid0(VALU_DEP_2)
	v_add_f64 v[0:1], v[54:55], v[0:1]
	v_mul_f64 v[54:55], v[224:225], s[28:29]
	scratch_load_b64 v[48:49], off, off offset:524 ; 8-byte Folded Reload
	v_add_f64 v[0:1], v[0:1], v[46:47]
	v_add_f64 v[12:13], v[12:13], -v[54:55]
	v_mul_f64 v[54:55], v[208:209], s[26:27]
	v_mul_f64 v[46:47], v[228:229], s[10:11]
	s_delay_alu instid0(VALU_DEP_3) | instskip(NEXT) | instid1(VALU_DEP_3)
	v_add_f64 v[8:9], v[12:13], v[8:9]
	v_add_f64 v[2:3], v[54:55], v[2:3]
	v_mul_f64 v[54:55], v[234:235], s[36:37]
	s_delay_alu instid0(VALU_DEP_4)
	v_add_f64 v[16:17], v[46:47], v[16:17]
	v_mul_f64 v[12:13], v[224:225], s[40:41]
	scratch_load_b64 v[46:47], off, off offset:548 ; 8-byte Folded Reload
	v_add_f64 v[0:1], v[2:3], v[0:1]
	v_add_f64 v[20:21], v[20:21], -v[54:55]
	v_mul_f64 v[54:55], v[216:217], s[22:23]
	v_mul_f64 v[2:3], v[251:252], s[30:31]
	v_add_f64 v[12:13], v[32:33], -v[12:13]
	v_mul_f64 v[32:33], v[251:252], s[20:21]
	v_add_f64 v[8:9], v[20:21], v[8:9]
	v_add_f64 v[10:11], v[54:55], v[10:11]
	v_mul_f64 v[54:55], v[247:248], s[34:35]
	v_add_f64 v[2:3], v[243:244], -v[2:3]
	v_mul_f64 v[20:21], v[247:248], s[14:15]
	v_add_f64 v[32:33], v[44:45], -v[32:33]
	scratch_load_b64 v[44:45], off, off offset:516 ; 8-byte Folded Reload
	v_add_f64 v[0:1], v[10:11], v[0:1]
	v_add_f64 v[24:25], v[24:25], -v[54:55]
	v_mul_f64 v[10:11], v[238:239], s[16:17]
	v_add_f64 v[20:21], v[38:39], -v[20:21]
	s_clause 0x1
	scratch_load_b64 v[38:39], off, off offset:532
	scratch_load_b64 v[54:55], off, off offset:580
	v_add_f64 v[0:1], v[16:17], v[0:1]
	v_add_f64 v[8:9], v[24:25], v[8:9]
	;; [unrolled: 1-line block ×3, first 2 shown]
	v_mul_f64 v[16:17], v[234:235], s[30:31]
	v_mul_f64 v[18:19], v[216:217], s[16:17]
	;; [unrolled: 1-line block ×3, first 2 shown]
	v_add_f64 v[2:3], v[2:3], v[8:9]
	v_add_f64 v[0:1], v[10:11], v[0:1]
	v_mul_f64 v[8:9], v[212:213], s[28:29]
	v_mul_f64 v[10:11], v[204:205], s[26:27]
	v_add_f64 v[16:17], v[34:35], -v[16:17]
	v_add_f64 v[18:19], v[18:19], v[28:29]
	v_mul_f64 v[28:29], v[247:248], s[30:31]
	v_mul_f64 v[34:35], v[238:239], s[18:19]
	v_add_f64 v[24:25], v[162:163], -v[24:25]
	v_add_f64 v[8:9], v[26:27], -v[8:9]
	v_add_f64 v[10:11], v[10:11], v[14:15]
	v_mul_f64 v[14:15], v[208:209], s[18:19]
	v_mul_f64 v[26:27], v[228:229], s[26:27]
	v_add_f64 v[28:29], v[42:43], -v[28:29]
	v_mul_f64 v[42:43], v[204:205], s[2:3]
	v_add_f64 v[34:35], v[34:35], v[40:41]
	scratch_load_b64 v[40:41], off, off offset:260 ; 8-byte Folded Reload
	v_add_f64 v[8:9], v[8:9], v[52:53]
	v_add_f64 v[10:11], v[10:11], v[50:51]
	;; [unrolled: 1-line block ×3, first 2 shown]
	v_mul_f64 v[22:23], v[228:229], s[2:3]
	v_add_f64 v[26:27], v[26:27], v[102:103]
	s_clause 0x1
	scratch_load_b64 v[52:53], off, off offset:540
	scratch_load_b64 v[50:51], off, off offset:564
	v_add_f64 v[8:9], v[12:13], v[8:9]
	v_mul_f64 v[12:13], v[251:252], s[24:25]
	v_add_f64 v[10:11], v[14:15], v[10:11]
	v_add_f64 v[22:23], v[22:23], v[30:31]
	v_mul_f64 v[14:15], v[238:239], s[22:23]
	v_mul_f64 v[30:31], v[228:229], s[16:17]
	v_add_f64 v[8:9], v[16:17], v[8:9]
	v_add_f64 v[12:13], v[202:203], -v[12:13]
	v_add_f64 v[10:11], v[18:19], v[10:11]
	v_mul_f64 v[18:19], v[208:209], s[16:17]
	v_add_f64 v[14:15], v[14:15], v[36:37]
	v_mul_f64 v[36:37], v[212:213], s[14:15]
	v_add_f64 v[30:31], v[30:31], v[106:107]
	v_add_f64 v[8:9], v[20:21], v[8:9]
	v_mul_f64 v[20:21], v[234:235], s[12:13]
	v_add_f64 v[16:17], v[22:23], v[10:11]
	v_add_f64 v[18:19], v[18:19], v[136:137]
	v_mul_f64 v[22:23], v[216:217], s[10:11]
	s_waitcnt vmcnt(5)
	v_add_f64 v[42:43], v[42:43], v[44:45]
	scratch_load_b64 v[44:45], off, off offset:284 ; 8-byte Folded Reload
	v_add_f64 v[10:11], v[12:13], v[8:9]
	v_mul_f64 v[12:13], v[212:213], s[36:37]
	v_add_f64 v[8:9], v[14:15], v[16:17]
	v_mul_f64 v[14:15], v[204:205], s[22:23]
	v_mul_f64 v[16:17], v[224:225], s[30:31]
	v_add_f64 v[20:21], v[210:211], -v[20:21]
	v_add_f64 v[22:23], v[22:23], v[206:207]
	s_waitcnt vmcnt(5)
	v_add_f64 v[36:37], v[38:39], -v[36:37]
	scratch_load_b64 v[38:39], off, off offset:244 ; 8-byte Folded Reload
	v_add_f64 v[42:43], v[42:43], v[184:185]
	v_add_f64 v[12:13], v[100:101], -v[12:13]
	v_add_f64 v[14:15], v[14:15], v[220:221]
	v_add_f64 v[16:17], v[138:139], -v[16:17]
	v_add_f64 v[36:37], v[36:37], v[186:187]
	s_delay_alu instid0(VALU_DEP_4) | instskip(NEXT) | instid1(VALU_DEP_4)
	v_add_f64 v[12:13], v[12:13], v[182:183]
	v_add_f64 v[14:15], v[14:15], v[62:63]
	s_delay_alu instid0(VALU_DEP_2) | instskip(SKIP_1) | instid1(VALU_DEP_3)
	v_add_f64 v[12:13], v[16:17], v[12:13]
	v_mul_f64 v[16:17], v[251:252], s[44:45]
	v_add_f64 v[14:15], v[18:19], v[14:15]
	v_mul_f64 v[18:19], v[238:239], s[2:3]
	s_waitcnt vmcnt(4)
	v_add_f64 v[40:41], v[200:201], v[40:41]
	v_add_f64 v[12:13], v[20:21], v[12:13]
	v_add_f64 v[16:17], v[214:215], -v[16:17]
	v_add_f64 v[14:15], v[22:23], v[14:15]
	v_add_f64 v[18:19], v[18:19], v[160:161]
	v_mul_f64 v[22:23], v[208:209], s[2:3]
	v_add_f64 v[12:13], v[24:25], v[12:13]
	v_mul_f64 v[24:25], v[234:235], s[42:43]
	;; [unrolled: 2-line block ×3, first 2 shown]
	v_add_f64 v[22:23], v[22:23], v[104:105]
	v_add_f64 v[14:15], v[16:17], v[12:13]
	v_mul_f64 v[16:17], v[212:213], s[34:35]
	v_add_f64 v[12:13], v[18:19], v[20:21]
	v_mul_f64 v[18:19], v[204:205], s[10:11]
	v_mul_f64 v[20:21], v[224:225], s[14:15]
	v_add_f64 v[24:25], v[88:89], -v[24:25]
	v_add_f64 v[26:27], v[26:27], v[218:219]
	v_add_f64 v[16:17], v[226:227], -v[16:17]
	v_add_f64 v[18:19], v[18:19], v[180:181]
	v_add_f64 v[20:21], v[230:231], -v[20:21]
	s_delay_alu instid0(VALU_DEP_3) | instskip(NEXT) | instid1(VALU_DEP_3)
	v_add_f64 v[16:17], v[16:17], v[94:95]
	v_add_f64 v[18:19], v[18:19], v[196:197]
	s_delay_alu instid0(VALU_DEP_2) | instskip(NEXT) | instid1(VALU_DEP_2)
	v_add_f64 v[16:17], v[20:21], v[16:17]
	v_add_f64 v[18:19], v[22:23], v[18:19]
	s_delay_alu instid0(VALU_DEP_2) | instskip(SKIP_3) | instid1(VALU_DEP_2)
	v_add_f64 v[16:17], v[24:25], v[16:17]
	scratch_load_b64 v[24:25], off, off offset:292 ; 8-byte Folded Reload
	v_add_f64 v[18:19], v[26:27], v[18:19]
	v_add_f64 v[16:17], v[28:29], v[16:17]
	v_add_f64 v[28:29], v[30:31], v[18:19]
	scratch_load_b64 v[18:19], off, off offset:228 ; 8-byte Folded Reload
	s_waitcnt vmcnt(2)
	v_add_f64 v[38:39], v[198:199], v[38:39]
	s_delay_alu instid0(VALU_DEP_1) | instskip(SKIP_4) | instid1(VALU_DEP_1)
	v_add_f64 v[38:39], v[38:39], v[44:45]
	scratch_load_b64 v[44:45], off, off offset:412 ; 8-byte Folded Reload
	s_waitcnt vmcnt(0)
	v_add_f64 v[40:41], v[40:41], v[44:45]
	v_mul_f64 v[44:45], v[224:225], s[12:13]
	v_add_f64 v[44:45], v[46:47], -v[44:45]
	scratch_load_b64 v[46:47], off, off offset:420 ; 8-byte Folded Reload
	v_add_f64 v[20:21], v[44:45], v[36:37]
	s_clause 0x1
	scratch_load_b64 v[36:37], off, off offset:428
	scratch_load_b64 v[26:27], off, off offset:404
	s_waitcnt vmcnt(2)
	v_add_f64 v[38:39], v[38:39], v[46:47]
	scratch_load_b64 v[46:47], off, off offset:444 ; 8-byte Folded Reload
	s_waitcnt vmcnt(0)
	v_add_f64 v[40:41], v[40:41], v[46:47]
	v_mul_f64 v[46:47], v[208:209], s[10:11]
	s_delay_alu instid0(VALU_DEP_1)
	v_add_f64 v[46:47], v[46:47], v[48:49]
	scratch_load_b64 v[48:49], off, off offset:452 ; 8-byte Folded Reload
	v_add_f64 v[22:23], v[46:47], v[42:43]
	scratch_load_b64 v[42:43], off, off offset:588 ; 8-byte Folded Reload
	s_waitcnt vmcnt(1)
	v_add_f64 v[38:39], v[38:39], v[48:49]
	scratch_load_b64 v[48:49], off, off offset:476 ; 8-byte Folded Reload
	s_waitcnt vmcnt(0)
	v_add_f64 v[40:41], v[40:41], v[48:49]
	v_mul_f64 v[48:49], v[234:235], s[20:21]
	s_delay_alu instid0(VALU_DEP_1)
	v_add_f64 v[48:49], v[50:51], -v[48:49]
	scratch_load_b64 v[50:51], off, off offset:508 ; 8-byte Folded Reload
	v_add_f64 v[20:21], v[48:49], v[20:21]
	s_waitcnt vmcnt(0)
	v_add_f64 v[38:39], v[38:39], v[50:51]
	scratch_load_b64 v[50:51], off, off offset:500 ; 8-byte Folded Reload
	v_add_f64 v[38:39], v[38:39], v[194:195]
	s_waitcnt vmcnt(0)
	v_add_f64 v[40:41], v[40:41], v[50:51]
	v_mul_f64 v[50:51], v[216:217], s[18:19]
	s_delay_alu instid0(VALU_DEP_2) | instskip(NEXT) | instid1(VALU_DEP_2)
	v_add_f64 v[40:41], v[40:41], v[192:193]
	v_add_f64 v[50:51], v[50:51], v[52:53]
	v_mul_f64 v[52:53], v[247:248], s[24:25]
	s_delay_alu instid0(VALU_DEP_2) | instskip(NEXT) | instid1(VALU_DEP_2)
	v_add_f64 v[22:23], v[50:51], v[22:23]
	v_add_f64 v[52:53], v[54:55], -v[52:53]
	scratch_load_b64 v[54:55], off, off offset:460 ; 8-byte Folded Reload
	v_add_f64 v[20:21], v[52:53], v[20:21]
	s_waitcnt vmcnt(0)
	v_add_f64 v[38:39], v[38:39], v[54:55]
	scratch_load_b64 v[54:55], off, off offset:468 ; 8-byte Folded Reload
	v_add_f64 v[36:37], v[38:39], v[36:37]
	scratch_load_b64 v[38:39], off, off offset:436 ; 8-byte Folded Reload
	v_add_f64 v[24:25], v[36:37], v[24:25]
	v_mul_f64 v[36:37], v[238:239], s[26:27]
	s_delay_alu instid0(VALU_DEP_2)
	v_add_f64 v[24:25], v[24:25], v[18:19]
	scratch_load_b64 v[18:19], off, off offset:236 ; 8-byte Folded Reload
	s_waitcnt vmcnt(2)
	v_add_f64 v[40:41], v[40:41], v[54:55]
	v_mul_f64 v[54:55], v[228:229], s[22:23]
	s_waitcnt vmcnt(1)
	s_delay_alu instid0(VALU_DEP_2) | instskip(SKIP_1) | instid1(VALU_DEP_2)
	v_add_f64 v[38:39], v[40:41], v[38:39]
	v_mul_f64 v[40:41], v[251:252], s[28:29]
	v_add_f64 v[26:27], v[38:39], v[26:27]
	scratch_load_b64 v[38:39], off, off offset:572 ; 8-byte Folded Reload
	s_waitcnt vmcnt(0)
	v_add_f64 v[36:37], v[36:37], v[38:39]
	v_add_f64 v[38:39], v[26:27], v[18:19]
	scratch_load_b64 v[26:27], off, off offset:196 ; 8-byte Folded Reload
	v_add_f64 v[18:19], v[32:33], v[16:17]
	v_add_f64 v[16:17], v[34:35], v[28:29]
	scratch_load_b32 v29, off, off offset:300 ; 4-byte Folded Reload
	v_add_f64 v[54:55], v[54:55], v[56:57]
	scratch_load_b32 v28, off, off offset:304 ; 4-byte Folded Reload
	v_add_f64 v[40:41], v[42:43], -v[40:41]
	v_add_f64 v[30:31], v[54:55], v[22:23]
	s_delay_alu instid0(VALU_DEP_2) | instskip(NEXT) | instid1(VALU_DEP_2)
	v_add_f64 v[22:23], v[40:41], v[20:21]
	v_add_f64 v[20:21], v[36:37], v[30:31]
	s_waitcnt vmcnt(2)
	v_add_f64 v[26:27], v[24:25], v[26:27]
	scratch_load_b64 v[24:25], off, off offset:212 ; 8-byte Folded Reload
	s_waitcnt vmcnt(1)
	v_mul_u32_u24_e32 v28, 26, v28
	s_delay_alu instid0(VALU_DEP_1) | instskip(NEXT) | instid1(VALU_DEP_1)
	v_or_b32_e32 v28, v28, v29
	v_lshlrev_b32_e32 v28, 4, v28
	s_waitcnt vmcnt(0)
	v_add_f64 v[24:25], v[38:39], v[24:25]
	ds_store_b128 v28, v[84:87] offset:256
	ds_store_b128 v28, v[80:83] offset:288
	;; [unrolled: 1-line block ×11, first 2 shown]
	ds_store_b128 v28, v[24:27]
	ds_store_b128 v28, v[64:67] offset:384
.LBB0_25:
	s_or_b32 exec_lo, exec_lo, s33
	s_waitcnt lgkmcnt(0)
	s_barrier
	buffer_gl0_inv
	ds_load_b128 v[88:91], v255
	ds_load_b128 v[136:139], v255 offset:4576
	ds_load_b128 v[104:107], v255 offset:9152
	;; [unrolled: 1-line block ×6, first 2 shown]
	s_and_saveexec_b32 s0, s1
	s_cbranch_execz .LBB0_27
; %bb.26:
	ds_load_b128 v[76:79], v255 offset:2912
	ds_load_b128 v[84:87], v255 offset:7488
	;; [unrolled: 1-line block ×7, first 2 shown]
	s_waitcnt lgkmcnt(0)
	scratch_store_b128 off, v[0:3], off offset:4 ; 16-byte Folded Spill
.LBB0_27:
	s_or_b32 exec_lo, exec_lo, s0
	s_waitcnt lgkmcnt(5)
	v_mul_f64 v[2:3], v[126:127], v[136:137]
	s_waitcnt lgkmcnt(4)
	v_mul_f64 v[6:7], v[122:123], v[104:105]
	;; [unrolled: 2-line block ×3, first 2 shown]
	v_mul_f64 v[14:15], v[110:111], v[100:101]
	v_mul_f64 v[0:1], v[126:127], v[138:139]
	;; [unrolled: 1-line block ×9, first 2 shown]
	s_mov_b32 s10, 0x37e14327
	s_mov_b32 s14, 0xe976ee23
	;; [unrolled: 1-line block ×20, first 2 shown]
	s_waitcnt_vscnt null, 0x0
	s_barrier
	buffer_gl0_inv
	v_fma_f64 v[2:3], v[124:125], v[138:139], -v[2:3]
	v_fma_f64 v[6:7], v[120:121], v[106:107], -v[6:7]
	;; [unrolled: 1-line block ×4, first 2 shown]
	v_fma_f64 v[0:1], v[124:125], v[136:137], v[0:1]
	v_fma_f64 v[4:5], v[120:121], v[104:105], v[4:5]
	v_fma_f64 v[8:9], v[116:117], v[180:181], v[8:9]
	v_fma_f64 v[12:13], v[108:109], v[100:101], v[12:13]
	v_fma_f64 v[16:17], v[152:153], v[96:97], v[16:17]
	v_fma_f64 v[18:19], v[152:153], v[98:99], -v[18:19]
	v_fma_f64 v[20:21], v[148:149], v[92:93], v[20:21]
	v_fma_f64 v[22:23], v[148:149], v[94:95], -v[22:23]
	v_add_f64 v[26:27], v[2:3], v[10:11]
	v_add_f64 v[30:31], v[6:7], v[14:15]
	v_add_f64 v[6:7], v[6:7], -v[14:15]
	v_add_f64 v[10:11], v[2:3], -v[10:11]
	v_add_f64 v[24:25], v[0:1], v[8:9]
	v_add_f64 v[28:29], v[4:5], v[12:13]
	v_add_f64 v[4:5], v[4:5], -v[12:13]
	v_add_f64 v[8:9], v[0:1], -v[8:9]
	;; [unrolled: 4-line block ×3, first 2 shown]
	v_add_f64 v[2:3], v[30:31], v[26:27]
	v_add_f64 v[38:39], v[6:7], -v[10:11]
	v_add_f64 v[0:1], v[28:29], v[24:25]
	v_add_f64 v[36:37], v[4:5], -v[8:9]
	v_add_f64 v[20:21], v[24:25], -v[12:13]
	;; [unrolled: 1-line block ×5, first 2 shown]
	v_add_f64 v[4:5], v[16:17], v[4:5]
	v_add_f64 v[6:7], v[18:19], v[6:7]
	v_add_f64 v[16:17], v[8:9], -v[16:17]
	v_add_f64 v[18:19], v[10:11], -v[18:19]
	v_add_f64 v[24:25], v[28:29], -v[24:25]
	v_add_f64 v[26:27], v[30:31], -v[26:27]
	v_add_f64 v[42:43], v[14:15], v[2:3]
	v_add_f64 v[14:15], v[14:15], -v[30:31]
	v_mul_f64 v[46:47], v[38:39], s[2:3]
	v_add_f64 v[40:41], v[12:13], v[0:1]
	v_add_f64 v[12:13], v[12:13], -v[28:29]
	v_mul_f64 v[44:45], v[36:37], s[2:3]
	v_mul_f64 v[20:21], v[20:21], s[10:11]
	;; [unrolled: 1-line block ×5, first 2 shown]
	v_add_f64 v[4:5], v[4:5], v[8:9]
	v_add_f64 v[6:7], v[6:7], v[10:11]
	;; [unrolled: 1-line block ×3, first 2 shown]
	v_mul_f64 v[30:31], v[14:15], s[18:19]
	v_add_f64 v[0:1], v[88:89], v[40:41]
	v_mul_f64 v[28:29], v[12:13], s[18:19]
	v_fma_f64 v[8:9], v[12:13], s[18:19], v[20:21]
	v_fma_f64 v[10:11], v[14:15], s[18:19], v[22:23]
	;; [unrolled: 1-line block ×4, first 2 shown]
	v_fma_f64 v[34:35], v[38:39], s[2:3], -v[34:35]
	v_fma_f64 v[18:19], v[18:19], s[24:25], -v[46:47]
	;; [unrolled: 1-line block ×6, first 2 shown]
	v_fma_f64 v[38:39], v[42:43], s[12:13], v[2:3]
	v_fma_f64 v[26:27], v[26:27], s[16:17], -v[30:31]
	v_fma_f64 v[36:37], v[40:41], s[12:13], v[0:1]
	v_fma_f64 v[24:25], v[24:25], s[16:17], -v[28:29]
	v_fma_f64 v[28:29], v[4:5], s[26:27], v[12:13]
	v_fma_f64 v[30:31], v[6:7], s[26:27], v[14:15]
	;; [unrolled: 1-line block ×6, first 2 shown]
	v_add_f64 v[46:47], v[10:11], v[38:39]
	v_add_f64 v[18:19], v[26:27], v[38:39]
	;; [unrolled: 1-line block ×6, first 2 shown]
	v_add_f64 v[6:7], v[46:47], -v[28:29]
	v_add_f64 v[26:27], v[28:29], v[46:47]
	scratch_load_b32 v28, off, off offset:268 ; 4-byte Folded Reload
	v_add_f64 v[10:11], v[22:23], -v[40:41]
	v_add_f64 v[4:5], v[30:31], v[44:45]
	v_add_f64 v[8:9], v[42:43], v[20:21]
	v_add_f64 v[12:13], v[16:17], -v[34:35]
	v_add_f64 v[14:15], v[32:33], v[18:19]
	v_add_f64 v[16:17], v[34:35], v[16:17]
	v_add_f64 v[18:19], v[18:19], -v[32:33]
	v_add_f64 v[20:21], v[20:21], -v[42:43]
	v_add_f64 v[22:23], v[40:41], v[22:23]
	v_add_f64 v[24:25], v[44:45], -v[30:31]
	s_waitcnt vmcnt(0)
	ds_store_b128 v28, v[0:3]
	ds_store_b128 v28, v[4:7] offset:416
	ds_store_b128 v28, v[8:11] offset:832
	;; [unrolled: 1-line block ×6, first 2 shown]
	s_and_saveexec_b32 s0, s1
	s_cbranch_execz .LBB0_29
; %bb.28:
	s_clause 0x5
	scratch_load_b128 v[32:35], off, off offset:340
	scratch_load_b128 v[46:49], off, off offset:4
	;; [unrolled: 1-line block ×6, first 2 shown]
	s_waitcnt vmcnt(4)
	v_mul_f64 v[0:1], v[34:35], v[46:47]
	v_mul_f64 v[10:11], v[34:35], v[48:49]
	scratch_load_b128 v[34:37], off, off offset:356 ; 16-byte Folded Reload
	s_waitcnt vmcnt(4)
	v_mul_f64 v[2:3], v[30:31], v[84:85]
	s_waitcnt vmcnt(2)
	v_mul_f64 v[4:5], v[44:45], v[64:65]
	v_mul_f64 v[6:7], v[26:27], v[80:81]
	;; [unrolled: 1-line block ×5, first 2 shown]
	s_waitcnt vmcnt(1)
	v_mul_f64 v[18:19], v[40:41], v[74:75]
	v_mul_f64 v[20:21], v[40:41], v[72:73]
	v_fma_f64 v[0:1], v[32:33], v[48:49], -v[0:1]
	v_fma_f64 v[10:11], v[32:33], v[46:47], v[10:11]
	v_fma_f64 v[2:3], v[28:29], v[86:87], -v[2:3]
	v_fma_f64 v[4:5], v[42:43], v[66:67], -v[4:5]
	;; [unrolled: 1-line block ×3, first 2 shown]
	v_fma_f64 v[8:9], v[28:29], v[84:85], v[8:9]
	v_fma_f64 v[12:13], v[24:25], v[80:81], v[12:13]
	;; [unrolled: 1-line block ×4, first 2 shown]
	v_fma_f64 v[20:21], v[38:39], v[74:75], -v[20:21]
	v_add_f64 v[24:25], v[2:3], v[0:1]
	v_add_f64 v[26:27], v[6:7], v[4:5]
	;; [unrolled: 1-line block ×3, first 2 shown]
	v_add_f64 v[8:9], v[8:9], -v[10:11]
	v_add_f64 v[30:31], v[12:13], v[14:15]
	v_add_f64 v[12:13], v[12:13], -v[14:15]
	v_add_f64 v[4:5], v[6:7], -v[4:5]
	;; [unrolled: 1-line block ×3, first 2 shown]
	v_add_f64 v[10:11], v[26:27], v[24:25]
	v_add_f64 v[0:1], v[30:31], v[28:29]
	s_delay_alu instid0(VALU_DEP_3) | instskip(NEXT) | instid1(VALU_DEP_1)
	v_add_f64 v[38:39], v[4:5], -v[6:7]
	v_mul_f64 v[46:47], v[38:39], s[2:3]
	s_waitcnt vmcnt(0)
	v_mul_f64 v[16:17], v[36:37], v[70:71]
	v_mul_f64 v[22:23], v[36:37], v[68:69]
	s_delay_alu instid0(VALU_DEP_2) | instskip(NEXT) | instid1(VALU_DEP_2)
	v_fma_f64 v[16:17], v[34:35], v[68:69], v[16:17]
	v_fma_f64 v[22:23], v[34:35], v[70:71], -v[22:23]
	v_add_f64 v[34:35], v[12:13], -v[8:9]
	s_delay_alu instid0(VALU_DEP_3) | instskip(NEXT) | instid1(VALU_DEP_3)
	v_add_f64 v[32:33], v[16:17], -v[18:19]
	v_add_f64 v[14:15], v[20:21], v[22:23]
	v_add_f64 v[16:17], v[18:19], v[16:17]
	v_add_f64 v[18:19], v[22:23], -v[20:21]
	v_mul_f64 v[44:45], v[34:35], s[2:3]
	v_add_f64 v[2:3], v[32:33], -v[12:13]
	v_add_f64 v[20:21], v[24:25], -v[14:15]
	;; [unrolled: 1-line block ×3, first 2 shown]
	v_add_f64 v[10:11], v[14:15], v[10:11]
	v_add_f64 v[14:15], v[14:15], -v[26:27]
	v_add_f64 v[36:37], v[18:19], -v[4:5]
	v_add_f64 v[40:41], v[16:17], v[0:1]
	v_add_f64 v[16:17], v[16:17], -v[30:31]
	v_add_f64 v[42:43], v[8:9], -v[32:33]
	v_add_f64 v[12:13], v[32:33], v[12:13]
	v_add_f64 v[4:5], v[18:19], v[4:5]
	v_add_f64 v[18:19], v[6:7], -v[18:19]
	v_add_f64 v[24:25], v[26:27], -v[24:25]
	;; [unrolled: 1-line block ×3, first 2 shown]
	v_mul_f64 v[32:33], v[2:3], s[14:15]
	v_mul_f64 v[20:21], v[20:21], s[10:11]
	;; [unrolled: 1-line block ×3, first 2 shown]
	v_add_f64 v[2:3], v[78:79], v[10:11]
	v_mul_f64 v[26:27], v[14:15], s[18:19]
	v_mul_f64 v[36:37], v[36:37], s[14:15]
	v_add_f64 v[0:1], v[76:77], v[40:41]
	v_mul_f64 v[30:31], v[16:17], s[18:19]
	v_add_f64 v[8:9], v[12:13], v[8:9]
	v_add_f64 v[4:5], v[4:5], v[6:7]
	v_fma_f64 v[6:7], v[42:43], s[22:23], v[32:33]
	v_fma_f64 v[12:13], v[14:15], s[18:19], v[20:21]
	;; [unrolled: 1-line block ×3, first 2 shown]
	v_fma_f64 v[16:17], v[42:43], s[24:25], -v[44:45]
	v_fma_f64 v[32:33], v[34:35], s[2:3], -v[32:33]
	v_fma_f64 v[10:11], v[10:11], s[12:13], v[2:3]
	v_fma_f64 v[20:21], v[24:25], s[20:21], -v[20:21]
	v_fma_f64 v[24:25], v[24:25], s[16:17], -v[26:27]
	v_fma_f64 v[26:27], v[18:19], s[22:23], v[36:37]
	;; [unrolled: 3-line block ×4, first 2 shown]
	v_fma_f64 v[16:17], v[8:9], s[26:27], v[16:17]
	v_fma_f64 v[8:9], v[8:9], s[26:27], v[32:33]
	v_add_f64 v[12:13], v[12:13], v[10:11]
	v_add_f64 v[20:21], v[20:21], v[10:11]
	;; [unrolled: 1-line block ×3, first 2 shown]
	v_fma_f64 v[32:33], v[4:5], s[26:27], v[26:27]
	v_fma_f64 v[38:39], v[4:5], s[26:27], v[18:19]
	;; [unrolled: 1-line block ×3, first 2 shown]
	v_add_f64 v[34:35], v[14:15], v[36:37]
	v_add_f64 v[40:41], v[22:23], v[36:37]
	;; [unrolled: 1-line block ×5, first 2 shown]
	v_add_f64 v[22:23], v[20:21], -v[16:17]
	v_add_f64 v[26:27], v[12:13], -v[30:31]
	;; [unrolled: 1-line block ×3, first 2 shown]
	v_add_f64 v[18:19], v[8:9], v[24:25]
	v_add_f64 v[24:25], v[32:33], v[34:35]
	;; [unrolled: 1-line block ×3, first 2 shown]
	v_add_f64 v[16:17], v[28:29], -v[4:5]
	v_add_f64 v[12:13], v[4:5], v[28:29]
	scratch_load_b32 v28, off, off offset:252 ; 4-byte Folded Reload
	v_add_f64 v[8:9], v[40:41], -v[38:39]
	v_add_f64 v[4:5], v[34:35], -v[32:33]
	s_waitcnt vmcnt(0)
	v_and_b32_e32 v28, 0xffff, v28
	s_delay_alu instid0(VALU_DEP_1)
	v_lshlrev_b32_e32 v28, 4, v28
	ds_store_b128 v28, v[0:3]
	ds_store_b128 v28, v[24:27] offset:416
	ds_store_b128 v28, v[20:23] offset:832
	;; [unrolled: 1-line block ×6, first 2 shown]
.LBB0_29:
	s_or_b32 exec_lo, exec_lo, s0
	s_waitcnt lgkmcnt(0)
	s_barrier
	buffer_gl0_inv
	ds_load_b128 v[0:3], v255 offset:2912
	ds_load_b128 v[4:7], v255 offset:29120
	;; [unrolled: 1-line block ×9, first 2 shown]
	s_mov_b32 s0, 0xf8bb580b
	s_mov_b32 s2, 0x8764f0ba
	;; [unrolled: 1-line block ×15, first 2 shown]
	s_waitcnt lgkmcnt(7)
	v_mul_f64 v[44:45], v[178:179], v[4:5]
	s_waitcnt lgkmcnt(6)
	v_mul_f64 v[46:47], v[146:147], v[8:9]
	v_mul_f64 v[36:37], v[158:159], v[2:3]
	;; [unrolled: 1-line block ×3, first 2 shown]
	s_waitcnt lgkmcnt(5)
	v_mul_f64 v[48:49], v[174:175], v[12:13]
	v_mul_f64 v[50:51], v[146:147], v[10:11]
	s_waitcnt lgkmcnt(4)
	v_mul_f64 v[56:57], v[114:115], v[16:17]
	s_waitcnt lgkmcnt(3)
	v_mul_f64 v[58:59], v[170:171], v[20:21]
	v_mul_f64 v[62:63], v[114:115], v[18:19]
	;; [unrolled: 1-line block ×4, first 2 shown]
	s_waitcnt lgkmcnt(0)
	v_mul_f64 v[72:73], v[166:167], v[34:35]
	v_mul_f64 v[60:61], v[178:179], v[6:7]
	;; [unrolled: 1-line block ×7, first 2 shown]
	s_mov_b32 s27, 0xbfe4f49e
	s_mov_b32 s30, 0xfd768dbf
	;; [unrolled: 1-line block ×15, first 2 shown]
	ds_load_b128 v[40:43], v255
	v_fma_f64 v[52:53], v[156:157], v[0:1], v[36:37]
	v_fma_f64 v[54:55], v[156:157], v[2:3], -v[38:39]
	ds_load_b128 v[36:39], v255 offset:17472
	v_fma_f64 v[0:1], v[176:177], v[6:7], -v[44:45]
	v_fma_f64 v[44:45], v[144:145], v[10:11], -v[46:47]
	;; [unrolled: 1-line block ×3, first 2 shown]
	v_fma_f64 v[14:15], v[144:145], v[8:9], v[50:51]
	v_fma_f64 v[18:19], v[112:113], v[18:19], -v[56:57]
	v_fma_f64 v[8:9], v[168:169], v[22:23], -v[58:59]
	v_fma_f64 v[16:17], v[112:113], v[16:17], v[62:63]
	v_fma_f64 v[10:11], v[168:169], v[20:21], v[68:69]
	;; [unrolled: 1-line block ×6, first 2 shown]
	v_fma_f64 v[20:21], v[128:129], v[26:27], -v[70:71]
	v_fma_f64 v[24:25], v[164:165], v[34:35], -v[74:75]
	v_fma_f64 v[26:27], v[132:133], v[28:29], v[76:77]
	v_fma_f64 v[28:29], v[132:133], v[30:31], -v[78:79]
	s_waitcnt lgkmcnt(0)
	v_mul_f64 v[82:83], v[142:143], v[36:37]
	v_mul_f64 v[80:81], v[142:143], v[38:39]
	v_add_f64 v[46:47], v[40:41], v[52:53]
	v_add_f64 v[48:49], v[42:43], v[54:55]
	v_add_f64 v[34:35], v[54:55], -v[0:1]
	v_add_f64 v[50:51], v[44:45], v[2:3]
	v_add_f64 v[60:61], v[16:17], v[10:11]
	v_add_f64 v[62:63], v[16:17], -v[10:11]
	v_add_f64 v[56:57], v[52:53], v[4:5]
	v_add_f64 v[52:53], v[52:53], -v[4:5]
	v_add_f64 v[64:65], v[12:13], v[22:23]
	v_add_f64 v[70:71], v[12:13], -v[22:23]
	v_add_f64 v[58:59], v[14:15], v[6:7]
	v_add_f64 v[66:67], v[20:21], v[24:25]
	v_add_f64 v[68:69], v[20:21], -v[24:25]
	v_fma_f64 v[32:33], v[140:141], v[38:39], -v[82:83]
	v_add_f64 v[38:39], v[44:45], -v[2:3]
	v_fma_f64 v[30:31], v[140:141], v[36:37], v[80:81]
	v_add_f64 v[36:37], v[54:55], v[0:1]
	v_add_f64 v[54:55], v[18:19], v[8:9]
	;; [unrolled: 1-line block ×4, first 2 shown]
	v_add_f64 v[48:49], v[18:19], -v[8:9]
	v_mul_f64 v[80:81], v[34:35], s[0:1]
	v_mul_f64 v[84:85], v[34:35], s[12:13]
	;; [unrolled: 1-line block ×5, first 2 shown]
	v_add_f64 v[14:15], v[14:15], -v[6:7]
	v_mul_f64 v[98:99], v[50:51], s[14:15]
	v_mul_f64 v[102:103], v[50:51], s[34:35]
	v_mul_f64 v[106:107], v[50:51], s[20:21]
	v_mul_f64 v[126:127], v[66:67], s[26:27]
	v_mul_f64 v[124:125], v[68:69], s[24:25]
	v_mul_f64 v[128:129], v[68:69], s[22:23]
	v_mul_f64 v[130:131], v[66:67], s[20:21]
	v_mul_f64 v[132:133], v[68:69], s[0:1]
	v_add_f64 v[74:75], v[28:29], v[32:33]
	v_mul_f64 v[96:97], v[38:39], s[12:13]
	v_mul_f64 v[100:101], v[38:39], s[24:25]
	;; [unrolled: 1-line block ×12, first 2 shown]
	v_add_f64 v[72:73], v[26:27], v[30:31]
	v_add_f64 v[76:77], v[26:27], -v[30:31]
	v_add_f64 v[78:79], v[28:29], -v[32:33]
	v_add_f64 v[16:17], v[46:47], v[16:17]
	v_add_f64 v[18:19], v[44:45], v[18:19]
	v_mul_f64 v[44:45], v[50:51], s[26:27]
	v_mul_f64 v[46:47], v[38:39], s[36:37]
	v_fma_f64 v[156:157], v[56:57], s[14:15], v[84:85]
	v_fma_f64 v[84:85], v[56:57], s[14:15], -v[84:85]
	v_fma_f64 v[160:161], v[56:57], s[20:21], v[88:89]
	v_fma_f64 v[88:89], v[56:57], s[20:21], -v[88:89]
	v_fma_f64 v[164:165], v[56:57], s[26:27], v[92:93]
	v_mul_f64 v[38:39], v[38:39], s[10:11]
	v_mul_f64 v[50:51], v[50:51], s[2:3]
	v_fma_f64 v[92:93], v[56:57], s[26:27], -v[92:93]
	v_fma_f64 v[168:169], v[56:57], s[34:35], v[34:35]
	v_fma_f64 v[34:35], v[56:57], s[34:35], -v[34:35]
	v_mul_f64 v[108:109], v[48:49], s[18:19]
	v_mul_f64 v[112:113], v[48:49], s[36:37]
	;; [unrolled: 1-line block ×3, first 2 shown]
	v_fma_f64 v[178:179], v[14:15], s[30:31], v[102:103]
	v_mul_f64 v[120:121], v[48:49], s[0:1]
	v_fma_f64 v[182:183], v[14:15], s[18:19], v[106:107]
	v_mul_f64 v[48:49], v[48:49], s[24:25]
	v_mul_f64 v[54:55], v[54:55], s[26:27]
	;; [unrolled: 1-line block ×6, first 2 shown]
	v_fma_f64 v[158:159], v[52:53], s[16:17], v[86:87]
	v_fma_f64 v[162:163], v[52:53], s[22:23], v[90:91]
	;; [unrolled: 1-line block ×9, first 2 shown]
	v_fma_f64 v[100:101], v[58:59], s[26:27], -v[100:101]
	v_fma_f64 v[180:181], v[58:59], s[20:21], v[104:105]
	v_fma_f64 v[104:105], v[58:59], s[20:21], -v[104:105]
	v_add_f64 v[12:13], v[16:17], v[12:13]
	v_add_f64 v[16:17], v[18:19], v[20:21]
	v_mul_f64 v[18:19], v[74:75], s[20:21]
	v_fma_f64 v[20:21], v[56:57], s[2:3], v[80:81]
	v_fma_f64 v[74:75], v[52:53], s[10:11], v[82:83]
	v_fma_f64 v[80:81], v[56:57], s[2:3], -v[80:81]
	v_fma_f64 v[82:83], v[52:53], s[0:1], v[82:83]
	v_fma_f64 v[52:53], v[58:59], s[14:15], v[96:97]
	;; [unrolled: 1-line block ×3, first 2 shown]
	v_fma_f64 v[96:97], v[58:59], s[14:15], -v[96:97]
	v_fma_f64 v[98:99], v[14:15], s[12:13], v[98:99]
	v_fma_f64 v[174:175], v[14:15], s[28:29], v[44:45]
	v_add_f64 v[156:157], v[40:41], v[156:157]
	v_fma_f64 v[176:177], v[58:59], s[34:35], v[46:47]
	v_add_f64 v[84:85], v[40:41], v[84:85]
	v_add_f64 v[160:161], v[40:41], v[160:161]
	v_fma_f64 v[46:47], v[58:59], s[34:35], -v[46:47]
	v_add_f64 v[88:89], v[40:41], v[88:89]
	v_add_f64 v[164:165], v[40:41], v[164:165]
	;; [unrolled: 1-line block ×4, first 2 shown]
	v_fma_f64 v[44:45], v[14:15], s[24:25], v[44:45]
	v_fma_f64 v[102:103], v[14:15], s[36:37], v[102:103]
	v_add_f64 v[34:35], v[40:41], v[34:35]
	v_fma_f64 v[184:185], v[60:61], s[34:35], v[112:113]
	v_fma_f64 v[186:187], v[62:63], s[30:31], v[114:115]
	v_add_f64 v[158:159], v[42:43], v[158:159]
	v_add_f64 v[162:163], v[42:43], v[162:163]
	;; [unrolled: 1-line block ×5, first 2 shown]
	v_mul_f64 v[134:135], v[66:67], s[2:3]
	v_add_f64 v[90:91], v[42:43], v[90:91]
	v_add_f64 v[86:87], v[42:43], v[86:87]
	v_fma_f64 v[188:189], v[60:61], s[14:15], v[116:117]
	v_fma_f64 v[190:191], v[62:63], s[12:13], v[118:119]
	v_mul_f64 v[136:137], v[68:69], s[30:31]
	v_mul_f64 v[138:139], v[66:67], s[34:35]
	v_add_f64 v[12:13], v[12:13], v[26:27]
	v_add_f64 v[16:17], v[16:17], v[28:29]
	v_fma_f64 v[26:27], v[14:15], s[22:23], v[106:107]
	v_add_f64 v[20:21], v[40:41], v[20:21]
	v_fma_f64 v[28:29], v[58:59], s[2:3], v[38:39]
	v_add_f64 v[80:81], v[40:41], v[80:81]
	v_add_f64 v[82:83], v[42:43], v[82:83]
	v_fma_f64 v[106:107], v[14:15], s[0:1], v[50:51]
	v_fma_f64 v[38:39], v[58:59], s[2:3], -v[38:39]
	v_fma_f64 v[14:15], v[14:15], s[10:11], v[50:51]
	v_add_f64 v[40:41], v[42:43], v[94:95]
	v_fma_f64 v[50:51], v[60:61], s[20:21], v[108:109]
	v_fma_f64 v[58:59], v[62:63], s[22:23], v[110:111]
	v_fma_f64 v[108:109], v[60:61], s[20:21], -v[108:109]
	v_fma_f64 v[110:111], v[62:63], s[18:19], v[110:111]
	v_add_f64 v[84:85], v[100:101], v[84:85]
	v_mul_f64 v[68:69], v[68:69], s[16:17]
	v_add_f64 v[46:47], v[46:47], v[88:89]
	v_add_f64 v[88:89], v[180:181], v[164:165]
	v_mul_f64 v[66:67], v[66:67], s[14:15]
	v_fma_f64 v[116:117], v[60:61], s[14:15], -v[116:117]
	v_fma_f64 v[94:95], v[62:63], s[0:1], v[122:123]
	v_add_f64 v[92:93], v[104:105], v[92:93]
	v_fma_f64 v[118:119], v[62:63], s[16:17], v[118:119]
	v_fma_f64 v[112:113], v[60:61], s[34:35], -v[112:113]
	v_fma_f64 v[114:115], v[62:63], s[36:37], v[114:115]
	v_mul_f64 v[144:145], v[78:79], s[10:11]
	v_add_f64 v[100:101], v[178:179], v[162:163]
	v_fma_f64 v[192:193], v[64:65], s[20:21], v[128:129]
	v_fma_f64 v[194:195], v[70:71], s[18:19], v[130:131]
	v_mul_f64 v[140:141], v[78:79], s[30:31]
	v_mul_f64 v[148:149], v[78:79], s[24:25]
	;; [unrolled: 1-line block ×4, first 2 shown]
	v_fma_f64 v[128:129], v[64:65], s[20:21], -v[128:129]
	v_fma_f64 v[130:131], v[70:71], s[22:23], v[130:131]
	v_add_f64 v[12:13], v[12:13], v[30:31]
	v_add_f64 v[16:17], v[16:17], v[32:33]
	;; [unrolled: 1-line block ×4, first 2 shown]
	v_fma_f64 v[32:33], v[60:61], s[2:3], v[120:121]
	v_add_f64 v[52:53], v[96:97], v[80:81]
	v_add_f64 v[80:81], v[98:99], v[82:83]
	;; [unrolled: 1-line block ×5, first 2 shown]
	v_fma_f64 v[42:43], v[62:63], s[10:11], v[122:123]
	v_add_f64 v[156:157], v[182:183], v[166:167]
	v_fma_f64 v[74:75], v[60:61], s[2:3], -v[120:121]
	v_fma_f64 v[120:121], v[60:61], s[26:27], v[48:49]
	v_fma_f64 v[122:123], v[62:63], s[28:29], v[54:55]
	v_add_f64 v[28:29], v[28:29], v[168:169]
	v_add_f64 v[104:105], v[106:107], v[170:171]
	v_fma_f64 v[48:49], v[60:61], s[26:27], -v[48:49]
	v_fma_f64 v[54:55], v[62:63], s[24:25], v[54:55]
	v_add_f64 v[34:35], v[38:39], v[34:35]
	v_add_f64 v[14:15], v[14:15], v[36:37]
	;; [unrolled: 1-line block ×5, first 2 shown]
	v_fma_f64 v[60:61], v[64:65], s[26:27], v[124:125]
	v_fma_f64 v[62:63], v[70:71], s[28:29], v[126:127]
	v_fma_f64 v[124:125], v[64:65], s[26:27], -v[124:125]
	v_fma_f64 v[126:127], v[70:71], s[24:25], v[126:127]
	v_fma_f64 v[86:87], v[70:71], s[36:37], v[138:139]
	v_fma_f64 v[40:41], v[64:65], s[2:3], -v[132:133]
	v_fma_f64 v[90:91], v[64:65], s[34:35], -v[136:137]
	v_fma_f64 v[106:107], v[64:65], s[14:15], v[68:69]
	v_add_f64 v[46:47], v[116:117], v[46:47]
	v_fma_f64 v[102:103], v[70:71], s[30:31], v[138:139]
	v_fma_f64 v[44:45], v[70:71], s[0:1], v[134:135]
	v_add_f64 v[84:85], v[112:113], v[84:85]
	v_fma_f64 v[112:113], v[76:77], s[16:17], v[154:155]
	v_fma_f64 v[116:117], v[76:77], s[22:23], v[18:19]
	v_add_f64 v[12:13], v[12:13], v[22:23]
	v_add_f64 v[16:17], v[16:17], v[24:25]
	v_add_f64 v[22:23], v[56:57], v[30:31]
	v_add_f64 v[20:21], v[50:51], v[20:21]
	v_fma_f64 v[24:25], v[64:65], s[2:3], v[132:133]
	v_add_f64 v[50:51], v[108:109], v[52:53]
	v_add_f64 v[52:53], v[110:111], v[80:81]
	v_add_f64 v[80:81], v[184:185], v[82:83]
	v_add_f64 v[82:83], v[186:187], v[96:97]
	v_fma_f64 v[30:31], v[70:71], s[10:11], v[134:135]
	v_add_f64 v[96:97], v[188:189], v[98:99]
	v_add_f64 v[98:99], v[190:191], v[100:101]
	v_fma_f64 v[56:57], v[64:65], s[34:35], v[136:137]
	v_add_f64 v[32:33], v[32:33], v[88:89]
	v_add_f64 v[42:43], v[42:43], v[156:157]
	;; [unrolled: 3-line block ×3, first 2 shown]
	v_add_f64 v[88:89], v[122:123], v[104:105]
	v_fma_f64 v[64:65], v[64:65], s[14:15], -v[68:69]
	v_fma_f64 v[66:67], v[70:71], s[16:17], v[66:67]
	v_add_f64 v[34:35], v[48:49], v[34:35]
	v_add_f64 v[14:15], v[54:55], v[14:15]
	;; [unrolled: 1-line block ×5, first 2 shown]
	v_fma_f64 v[70:71], v[76:77], s[36:37], v[142:143]
	v_fma_f64 v[136:137], v[76:77], s[30:31], v[142:143]
	;; [unrolled: 1-line block ×7, first 2 shown]
	v_fma_f64 v[134:135], v[72:73], s[34:35], -v[140:141]
	v_fma_f64 v[104:105], v[72:73], s[14:15], v[152:153]
	v_fma_f64 v[114:115], v[72:73], s[20:21], v[78:79]
	v_add_f64 v[40:41], v[40:41], v[46:47]
	v_fma_f64 v[48:49], v[72:73], s[2:3], -v[144:145]
	v_add_f64 v[10:11], v[12:13], v[10:11]
	v_add_f64 v[8:9], v[16:17], v[8:9]
	;; [unrolled: 1-line block ×3, first 2 shown]
	v_fma_f64 v[16:17], v[72:73], s[2:3], v[144:145]
	v_fma_f64 v[22:23], v[76:77], s[0:1], v[146:147]
	v_fma_f64 v[76:77], v[76:77], s[18:19], v[18:19]
	v_add_f64 v[18:19], v[60:61], v[20:21]
	v_add_f64 v[20:21], v[124:125], v[50:51]
	;; [unrolled: 1-line block ×5, first 2 shown]
	v_fma_f64 v[58:59], v[72:73], s[26:27], v[148:149]
	v_add_f64 v[24:25], v[24:25], v[96:97]
	v_add_f64 v[30:31], v[30:31], v[98:99]
	v_add_f64 v[32:33], v[56:57], v[32:33]
	v_add_f64 v[42:43], v[86:87], v[42:43]
	v_add_f64 v[46:47], v[90:91], v[74:75]
	v_add_f64 v[56:57], v[106:107], v[28:29]
	v_add_f64 v[74:75], v[132:133], v[88:89]
	v_fma_f64 v[94:95], v[72:73], s[26:27], -v[148:149]
	v_fma_f64 v[110:111], v[72:73], s[14:15], -v[152:153]
	;; [unrolled: 1-line block ×3, first 2 shown]
	v_add_f64 v[64:65], v[64:65], v[34:35]
	v_add_f64 v[66:67], v[66:67], v[14:15]
	;; [unrolled: 1-line block ×6, first 2 shown]
	s_mul_i32 s1, s5, 0x3e9
	s_mul_hi_u32 s2, s4, 0x3e9
	s_mul_i32 s0, s4, 0x3e9
	s_mul_hi_u32 s3, s4, 0xfffffccd
	s_add_i32 s1, s2, s1
	v_add_f64 v[84:85], v[10:11], v[6:7]
	v_add_f64 v[86:87], v[8:9], v[2:3]
	;; [unrolled: 1-line block ×25, first 2 shown]
	ds_store_b128 v255, v[10:13] offset:5824
	ds_store_b128 v255, v[18:21] offset:8736
	;; [unrolled: 1-line block ×9, first 2 shown]
	ds_store_b128 v255, v[42:45]
	ds_store_b128 v255, v[2:5] offset:2912
	s_waitcnt lgkmcnt(0)
	s_barrier
	buffer_gl0_inv
	ds_load_b128 v[0:3], v255
	ds_load_b128 v[4:7], v255 offset:16016
	scratch_load_b64 v[8:9], off, off offset:20 ; 8-byte Folded Reload
	s_waitcnt vmcnt(0)
	v_mov_b32_e32 v46, v8
	ds_load_b128 v[8:11], v255 offset:2912
	ds_load_b128 v[12:15], v255 offset:18928
	scratch_load_b32 v87, off, off          ; 4-byte Folded Reload
	ds_load_b128 v[16:19], v255 offset:5824
	ds_load_b128 v[20:23], v255 offset:21840
	;; [unrolled: 1-line block ×6, first 2 shown]
	s_clause 0x1
	scratch_load_b128 v[88:91], off, off offset:36
	scratch_load_b128 v[98:101], off, off offset:100
	v_mad_u64_u32 v[40:41], null, s6, v46, 0
	scratch_load_b128 v[102:105], off, off offset:116 ; 16-byte Folded Reload
	s_mul_i32 s6, s4, 0xfffffccd
	s_waitcnt vmcnt(3)
	v_mad_u64_u32 v[42:43], null, s4, v87, 0
	s_waitcnt vmcnt(2) lgkmcnt(9)
	v_mul_f64 v[47:48], v[90:91], v[0:1]
	s_waitcnt vmcnt(1) lgkmcnt(6)
	v_mul_f64 v[57:58], v[100:101], v[14:15]
	v_mul_f64 v[59:60], v[100:101], v[12:13]
	s_sub_i32 s4, s3, s4
	s_lshl_b64 s[2:3], s[0:1], 4
	v_mad_u64_u32 v[44:45], null, s7, v46, v[41:42]
	v_mul_f64 v[45:46], v[90:91], v[2:3]
	scratch_load_b128 v[90:93], off, off offset:52 ; 16-byte Folded Reload
	s_waitcnt vmcnt(1)
	v_mul_f64 v[49:50], v[104:105], v[6:7]
	v_mul_f64 v[51:52], v[104:105], v[4:5]
	scratch_load_b128 v[104:107], off, off offset:132 ; 16-byte Folded Reload
	v_mov_b32_e32 v41, v44
	v_mad_u64_u32 v[85:86], null, s5, v87, v[43:44]
	s_mulk_i32 s5, 0xfccd
	s_delay_alu instid0(VALU_DEP_2) | instskip(SKIP_1) | instid1(SALU_CYCLE_1)
	v_lshlrev_b64 v[40:41], 4, v[40:41]
	s_add_i32 s7, s4, s5
	s_lshl_b64 s[4:5], s[6:7], 4
	s_delay_alu instid0(VALU_DEP_2) | instskip(SKIP_1) | instid1(VALU_DEP_2)
	v_mov_b32_e32 v43, v85
	s_mov_b32 s6, 0x27a3ee9c
	v_add_co_u32 v85, s0, s8, v40
	s_delay_alu instid0(VALU_DEP_1) | instskip(NEXT) | instid1(VALU_DEP_3)
	v_add_co_ci_u32_e64 v86, s0, s9, v41, s0
	v_lshlrev_b64 v[42:43], 4, v[42:43]
	s_mov_b32 s7, 0x3f405e1d
	s_delay_alu instid0(VALU_DEP_1) | instskip(NEXT) | instid1(VALU_DEP_1)
	v_add_co_u32 v42, s0, v85, v42
	v_add_co_ci_u32_e64 v43, s0, v86, v43, s0
	v_fma_f64 v[40:41], v[88:89], v[2:3], -v[47:48]
	v_fma_f64 v[0:1], v[88:89], v[0:1], v[45:46]
	v_fma_f64 v[44:45], v[102:103], v[4:5], v[49:50]
	v_fma_f64 v[46:47], v[102:103], v[6:7], -v[51:52]
	s_delay_alu instid0(VALU_DEP_4) | instskip(NEXT) | instid1(VALU_DEP_4)
	v_mul_f64 v[4:5], v[40:41], s[6:7]
	v_mul_f64 v[2:3], v[0:1], s[6:7]
	s_delay_alu instid0(VALU_DEP_4)
	v_mul_f64 v[6:7], v[44:45], s[6:7]
	s_waitcnt vmcnt(1)
	v_mul_f64 v[53:54], v[92:93], v[10:11]
	v_mul_f64 v[55:56], v[92:93], v[8:9]
	scratch_load_b128 v[92:95], off, off offset:68 ; 16-byte Folded Reload
	s_waitcnt vmcnt(1) lgkmcnt(3)
	v_mul_f64 v[69:70], v[106:107], v[26:27]
	v_mul_f64 v[71:72], v[106:107], v[24:25]
	scratch_load_b128 v[106:109], off, off offset:148 ; 16-byte Folded Reload
	v_fma_f64 v[48:49], v[90:91], v[8:9], v[53:54]
	v_fma_f64 v[50:51], v[90:91], v[10:11], -v[55:56]
	v_fma_f64 v[52:53], v[98:99], v[12:13], v[57:58]
	v_fma_f64 v[54:55], v[98:99], v[14:15], -v[59:60]
	v_mul_f64 v[8:9], v[46:47], s[6:7]
	v_mul_f64 v[10:11], v[48:49], s[6:7]
	;; [unrolled: 1-line block ×4, first 2 shown]
	s_waitcnt vmcnt(1)
	v_mul_f64 v[61:62], v[94:95], v[18:19]
	v_mul_f64 v[63:64], v[94:95], v[16:17]
	scratch_load_b128 v[94:97], off, off offset:84 ; 16-byte Folded Reload
	s_waitcnt vmcnt(1) lgkmcnt(2)
	v_mul_f64 v[73:74], v[108:109], v[30:31]
	v_mul_f64 v[75:76], v[108:109], v[28:29]
	scratch_load_b128 v[108:111], off, off offset:164 ; 16-byte Folded Reload
	v_fma_f64 v[56:57], v[92:93], v[16:17], v[61:62]
	v_fma_f64 v[58:59], v[92:93], v[18:19], -v[63:64]
	v_mul_f64 v[16:17], v[54:55], s[6:7]
	s_delay_alu instid0(VALU_DEP_3)
	v_mul_f64 v[18:19], v[56:57], s[6:7]
	s_waitcnt vmcnt(1)
	v_mul_f64 v[65:66], v[96:97], v[22:23]
	v_mul_f64 v[67:68], v[96:97], v[20:21]
	s_waitcnt vmcnt(0) lgkmcnt(1)
	v_mul_f64 v[77:78], v[110:111], v[34:35]
	v_mul_f64 v[79:80], v[110:111], v[32:33]
	scratch_load_b128 v[110:113], off, off offset:180 ; 16-byte Folded Reload
	v_fma_f64 v[60:61], v[94:95], v[20:21], v[65:66]
	v_fma_f64 v[62:63], v[94:95], v[22:23], -v[67:68]
	v_fma_f64 v[64:65], v[104:105], v[24:25], v[69:70]
	v_fma_f64 v[66:67], v[104:105], v[26:27], -v[71:72]
	;; [unrolled: 2-line block ×3, first 2 shown]
	v_mul_f64 v[20:21], v[58:59], s[6:7]
	v_fma_f64 v[72:73], v[108:109], v[32:33], v[77:78]
	v_fma_f64 v[74:75], v[108:109], v[34:35], -v[79:80]
	v_add_co_u32 v80, s0, v42, s2
	v_mul_f64 v[22:23], v[60:61], s[6:7]
	v_mul_f64 v[24:25], v[62:63], s[6:7]
	;; [unrolled: 1-line block ×7, first 2 shown]
	s_waitcnt vmcnt(0) lgkmcnt(0)
	v_mul_f64 v[81:82], v[112:113], v[38:39]
	v_mul_f64 v[83:84], v[112:113], v[36:37]
	s_delay_alu instid0(VALU_DEP_2) | instskip(NEXT) | instid1(VALU_DEP_2)
	v_fma_f64 v[76:77], v[110:111], v[36:37], v[81:82]
	v_fma_f64 v[78:79], v[110:111], v[38:39], -v[83:84]
	v_add_co_ci_u32_e64 v81, s0, s3, v43, s0
	v_mul_f64 v[36:37], v[74:75], s[6:7]
	v_add_co_u32 v82, s0, v80, s4
	s_delay_alu instid0(VALU_DEP_1) | instskip(NEXT) | instid1(VALU_DEP_2)
	v_add_co_ci_u32_e64 v83, s0, s5, v81, s0
	v_add_co_u32 v84, s0, v82, s2
	s_delay_alu instid0(VALU_DEP_1) | instskip(NEXT) | instid1(VALU_DEP_2)
	v_add_co_ci_u32_e64 v85, s0, s3, v83, s0
	;; [unrolled: 3-line block ×6, first 2 shown]
	v_add_co_u32 v52, s0, v50, s4
	s_delay_alu instid0(VALU_DEP_1) | instskip(SKIP_2) | instid1(VALU_DEP_4)
	v_add_co_ci_u32_e64 v53, s0, s5, v51, s0
	v_mul_f64 v[38:39], v[76:77], s[6:7]
	v_mul_f64 v[40:41], v[78:79], s[6:7]
	v_add_co_u32 v0, s0, v52, s2
	s_delay_alu instid0(VALU_DEP_1)
	v_add_co_ci_u32_e64 v1, s0, s3, v53, s0
	s_clause 0x4
	global_store_b128 v[42:43], v[2:5], off
	global_store_b128 v[80:81], v[6:9], off
	;; [unrolled: 1-line block ×10, first 2 shown]
	s_and_b32 exec_lo, exec_lo, vcc_lo
	s_cbranch_execz .LBB0_31
; %bb.30:
	scratch_load_b64 v[2:3], off, off offset:28 ; 8-byte Folded Reload
	v_add_co_u32 v0, vcc_lo, v0, s4
	v_add_co_ci_u32_e32 v1, vcc_lo, s5, v1, vcc_lo
	s_waitcnt vmcnt(0)
	global_load_b128 v[2:5], v[2:3], off offset:2272
	scratch_load_b64 v[6:7], off, off offset:276 ; 8-byte Folded Reload
	s_waitcnt vmcnt(0)
	global_load_b128 v[6:9], v[6:7], off offset:1904
	ds_load_b128 v[10:13], v255 offset:14560
	ds_load_b128 v[14:17], v255 offset:30576
	s_waitcnt lgkmcnt(1)
	v_mul_f64 v[18:19], v[12:13], v[4:5]
	v_mul_f64 v[4:5], v[10:11], v[4:5]
	s_delay_alu instid0(VALU_DEP_2) | instskip(NEXT) | instid1(VALU_DEP_2)
	v_fma_f64 v[10:11], v[10:11], v[2:3], v[18:19]
	v_fma_f64 v[4:5], v[2:3], v[12:13], -v[4:5]
	s_delay_alu instid0(VALU_DEP_2) | instskip(NEXT) | instid1(VALU_DEP_2)
	v_mul_f64 v[2:3], v[10:11], s[6:7]
	v_mul_f64 v[4:5], v[4:5], s[6:7]
	v_add_co_u32 v10, vcc_lo, v0, s2
	v_add_co_ci_u32_e32 v11, vcc_lo, s3, v1, vcc_lo
	s_waitcnt vmcnt(0) lgkmcnt(0)
	v_mul_f64 v[20:21], v[16:17], v[8:9]
	v_mul_f64 v[8:9], v[14:15], v[8:9]
	s_delay_alu instid0(VALU_DEP_2) | instskip(NEXT) | instid1(VALU_DEP_2)
	v_fma_f64 v[12:13], v[14:15], v[6:7], v[20:21]
	v_fma_f64 v[8:9], v[6:7], v[16:17], -v[8:9]
	s_delay_alu instid0(VALU_DEP_2) | instskip(NEXT) | instid1(VALU_DEP_2)
	v_mul_f64 v[6:7], v[12:13], s[6:7]
	v_mul_f64 v[8:9], v[8:9], s[6:7]
	global_store_b128 v[0:1], v[2:5], off
	global_store_b128 v[10:11], v[6:9], off
.LBB0_31:
	s_nop 0
	s_sendmsg sendmsg(MSG_DEALLOC_VGPRS)
	s_endpgm
	.section	.rodata,"a",@progbits
	.p2align	6, 0x0
	.amdhsa_kernel bluestein_single_back_len2002_dim1_dp_op_CI_CI
		.amdhsa_group_segment_fixed_size 32032
		.amdhsa_private_segment_fixed_size 600
		.amdhsa_kernarg_size 104
		.amdhsa_user_sgpr_count 15
		.amdhsa_user_sgpr_dispatch_ptr 0
		.amdhsa_user_sgpr_queue_ptr 0
		.amdhsa_user_sgpr_kernarg_segment_ptr 1
		.amdhsa_user_sgpr_dispatch_id 0
		.amdhsa_user_sgpr_private_segment_size 0
		.amdhsa_wavefront_size32 1
		.amdhsa_uses_dynamic_stack 0
		.amdhsa_enable_private_segment 1
		.amdhsa_system_sgpr_workgroup_id_x 1
		.amdhsa_system_sgpr_workgroup_id_y 0
		.amdhsa_system_sgpr_workgroup_id_z 0
		.amdhsa_system_sgpr_workgroup_info 0
		.amdhsa_system_vgpr_workitem_id 0
		.amdhsa_next_free_vgpr 256
		.amdhsa_next_free_sgpr 46
		.amdhsa_reserve_vcc 1
		.amdhsa_float_round_mode_32 0
		.amdhsa_float_round_mode_16_64 0
		.amdhsa_float_denorm_mode_32 3
		.amdhsa_float_denorm_mode_16_64 3
		.amdhsa_dx10_clamp 1
		.amdhsa_ieee_mode 1
		.amdhsa_fp16_overflow 0
		.amdhsa_workgroup_processor_mode 1
		.amdhsa_memory_ordered 1
		.amdhsa_forward_progress 0
		.amdhsa_shared_vgpr_count 0
		.amdhsa_exception_fp_ieee_invalid_op 0
		.amdhsa_exception_fp_denorm_src 0
		.amdhsa_exception_fp_ieee_div_zero 0
		.amdhsa_exception_fp_ieee_overflow 0
		.amdhsa_exception_fp_ieee_underflow 0
		.amdhsa_exception_fp_ieee_inexact 0
		.amdhsa_exception_int_div_zero 0
	.end_amdhsa_kernel
	.text
.Lfunc_end0:
	.size	bluestein_single_back_len2002_dim1_dp_op_CI_CI, .Lfunc_end0-bluestein_single_back_len2002_dim1_dp_op_CI_CI
                                        ; -- End function
	.section	.AMDGPU.csdata,"",@progbits
; Kernel info:
; codeLenInByte = 28156
; NumSgprs: 48
; NumVgprs: 256
; ScratchSize: 600
; MemoryBound: 0
; FloatMode: 240
; IeeeMode: 1
; LDSByteSize: 32032 bytes/workgroup (compile time only)
; SGPRBlocks: 5
; VGPRBlocks: 31
; NumSGPRsForWavesPerEU: 48
; NumVGPRsForWavesPerEU: 256
; Occupancy: 5
; WaveLimiterHint : 1
; COMPUTE_PGM_RSRC2:SCRATCH_EN: 1
; COMPUTE_PGM_RSRC2:USER_SGPR: 15
; COMPUTE_PGM_RSRC2:TRAP_HANDLER: 0
; COMPUTE_PGM_RSRC2:TGID_X_EN: 1
; COMPUTE_PGM_RSRC2:TGID_Y_EN: 0
; COMPUTE_PGM_RSRC2:TGID_Z_EN: 0
; COMPUTE_PGM_RSRC2:TIDIG_COMP_CNT: 0
	.text
	.p2alignl 7, 3214868480
	.fill 96, 4, 3214868480
	.type	__hip_cuid_ba9c12e796d7665,@object ; @__hip_cuid_ba9c12e796d7665
	.section	.bss,"aw",@nobits
	.globl	__hip_cuid_ba9c12e796d7665
__hip_cuid_ba9c12e796d7665:
	.byte	0                               ; 0x0
	.size	__hip_cuid_ba9c12e796d7665, 1

	.ident	"AMD clang version 19.0.0git (https://github.com/RadeonOpenCompute/llvm-project roc-6.4.0 25133 c7fe45cf4b819c5991fe208aaa96edf142730f1d)"
	.section	".note.GNU-stack","",@progbits
	.addrsig
	.addrsig_sym __hip_cuid_ba9c12e796d7665
	.amdgpu_metadata
---
amdhsa.kernels:
  - .args:
      - .actual_access:  read_only
        .address_space:  global
        .offset:         0
        .size:           8
        .value_kind:     global_buffer
      - .actual_access:  read_only
        .address_space:  global
        .offset:         8
        .size:           8
        .value_kind:     global_buffer
      - .actual_access:  read_only
        .address_space:  global
        .offset:         16
        .size:           8
        .value_kind:     global_buffer
      - .actual_access:  read_only
        .address_space:  global
        .offset:         24
        .size:           8
        .value_kind:     global_buffer
      - .actual_access:  read_only
        .address_space:  global
        .offset:         32
        .size:           8
        .value_kind:     global_buffer
      - .offset:         40
        .size:           8
        .value_kind:     by_value
      - .address_space:  global
        .offset:         48
        .size:           8
        .value_kind:     global_buffer
      - .address_space:  global
        .offset:         56
        .size:           8
        .value_kind:     global_buffer
      - .address_space:  global
        .offset:         64
        .size:           8
        .value_kind:     global_buffer
      - .address_space:  global
        .offset:         72
        .size:           8
        .value_kind:     global_buffer
      - .offset:         80
        .size:           4
        .value_kind:     by_value
      - .address_space:  global
        .offset:         88
        .size:           8
        .value_kind:     global_buffer
      - .address_space:  global
        .offset:         96
        .size:           8
        .value_kind:     global_buffer
    .group_segment_fixed_size: 32032
    .kernarg_segment_align: 8
    .kernarg_segment_size: 104
    .language:       OpenCL C
    .language_version:
      - 2
      - 0
    .max_flat_workgroup_size: 182
    .name:           bluestein_single_back_len2002_dim1_dp_op_CI_CI
    .private_segment_fixed_size: 600
    .sgpr_count:     48
    .sgpr_spill_count: 0
    .symbol:         bluestein_single_back_len2002_dim1_dp_op_CI_CI.kd
    .uniform_work_group_size: 1
    .uses_dynamic_stack: false
    .vgpr_count:     256
    .vgpr_spill_count: 211
    .wavefront_size: 32
    .workgroup_processor_mode: 1
amdhsa.target:   amdgcn-amd-amdhsa--gfx1100
amdhsa.version:
  - 1
  - 2
...

	.end_amdgpu_metadata
